;; amdgpu-corpus repo=ROCm/rocFFT kind=compiled arch=gfx1030 opt=O3
	.text
	.amdgcn_target "amdgcn-amd-amdhsa--gfx1030"
	.amdhsa_code_object_version 6
	.protected	fft_rtc_fwd_len3000_factors_10_3_10_10_wgs_100_tpt_100_halfLds_sp_op_CI_CI_unitstride_sbrr_R2C_dirReg ; -- Begin function fft_rtc_fwd_len3000_factors_10_3_10_10_wgs_100_tpt_100_halfLds_sp_op_CI_CI_unitstride_sbrr_R2C_dirReg
	.globl	fft_rtc_fwd_len3000_factors_10_3_10_10_wgs_100_tpt_100_halfLds_sp_op_CI_CI_unitstride_sbrr_R2C_dirReg
	.p2align	8
	.type	fft_rtc_fwd_len3000_factors_10_3_10_10_wgs_100_tpt_100_halfLds_sp_op_CI_CI_unitstride_sbrr_R2C_dirReg,@function
fft_rtc_fwd_len3000_factors_10_3_10_10_wgs_100_tpt_100_halfLds_sp_op_CI_CI_unitstride_sbrr_R2C_dirReg: ; @fft_rtc_fwd_len3000_factors_10_3_10_10_wgs_100_tpt_100_halfLds_sp_op_CI_CI_unitstride_sbrr_R2C_dirReg
; %bb.0:
	s_clause 0x2
	s_load_dwordx4 s[12:15], s[4:5], 0x0
	s_load_dwordx4 s[8:11], s[4:5], 0x58
	;; [unrolled: 1-line block ×3, first 2 shown]
	v_mul_u32_u24_e32 v1, 0x290, v0
	v_mov_b32_e32 v3, 0
	v_add_nc_u32_sdwa v5, s6, v1 dst_sel:DWORD dst_unused:UNUSED_PAD src0_sel:DWORD src1_sel:WORD_1
	v_mov_b32_e32 v1, 0
	v_mov_b32_e32 v6, v3
	v_mov_b32_e32 v2, 0
	s_waitcnt lgkmcnt(0)
	v_cmp_lt_u64_e64 s0, s[14:15], 2
	s_and_b32 vcc_lo, exec_lo, s0
	s_cbranch_vccnz .LBB0_8
; %bb.1:
	s_load_dwordx2 s[0:1], s[4:5], 0x10
	v_mov_b32_e32 v1, 0
	v_mov_b32_e32 v2, 0
	s_add_u32 s2, s18, 8
	s_addc_u32 s3, s19, 0
	s_add_u32 s6, s16, 8
	s_addc_u32 s7, s17, 0
	v_mov_b32_e32 v47, v2
	v_mov_b32_e32 v46, v1
	s_mov_b64 s[22:23], 1
	s_waitcnt lgkmcnt(0)
	s_add_u32 s20, s0, 8
	s_addc_u32 s21, s1, 0
.LBB0_2:                                ; =>This Inner Loop Header: Depth=1
	s_load_dwordx2 s[24:25], s[20:21], 0x0
                                        ; implicit-def: $vgpr50_vgpr51
	s_mov_b32 s0, exec_lo
	s_waitcnt lgkmcnt(0)
	v_or_b32_e32 v4, s25, v6
	v_cmpx_ne_u64_e32 0, v[3:4]
	s_xor_b32 s1, exec_lo, s0
	s_cbranch_execz .LBB0_4
; %bb.3:                                ;   in Loop: Header=BB0_2 Depth=1
	v_cvt_f32_u32_e32 v4, s24
	v_cvt_f32_u32_e32 v7, s25
	s_sub_u32 s0, 0, s24
	s_subb_u32 s26, 0, s25
	v_fmac_f32_e32 v4, 0x4f800000, v7
	v_rcp_f32_e32 v4, v4
	v_mul_f32_e32 v4, 0x5f7ffffc, v4
	v_mul_f32_e32 v7, 0x2f800000, v4
	v_trunc_f32_e32 v7, v7
	v_fmac_f32_e32 v4, 0xcf800000, v7
	v_cvt_u32_f32_e32 v7, v7
	v_cvt_u32_f32_e32 v4, v4
	v_mul_lo_u32 v8, s0, v7
	v_mul_hi_u32 v9, s0, v4
	v_mul_lo_u32 v10, s26, v4
	v_add_nc_u32_e32 v8, v9, v8
	v_mul_lo_u32 v9, s0, v4
	v_add_nc_u32_e32 v8, v8, v10
	v_mul_hi_u32 v10, v4, v9
	v_mul_lo_u32 v11, v4, v8
	v_mul_hi_u32 v12, v4, v8
	v_mul_hi_u32 v13, v7, v9
	v_mul_lo_u32 v9, v7, v9
	v_mul_hi_u32 v14, v7, v8
	v_mul_lo_u32 v8, v7, v8
	v_add_co_u32 v10, vcc_lo, v10, v11
	v_add_co_ci_u32_e32 v11, vcc_lo, 0, v12, vcc_lo
	v_add_co_u32 v9, vcc_lo, v10, v9
	v_add_co_ci_u32_e32 v9, vcc_lo, v11, v13, vcc_lo
	v_add_co_ci_u32_e32 v10, vcc_lo, 0, v14, vcc_lo
	v_add_co_u32 v8, vcc_lo, v9, v8
	v_add_co_ci_u32_e32 v9, vcc_lo, 0, v10, vcc_lo
	v_add_co_u32 v4, vcc_lo, v4, v8
	v_add_co_ci_u32_e32 v7, vcc_lo, v7, v9, vcc_lo
	v_mul_hi_u32 v8, s0, v4
	v_mul_lo_u32 v10, s26, v4
	v_mul_lo_u32 v9, s0, v7
	v_add_nc_u32_e32 v8, v8, v9
	v_mul_lo_u32 v9, s0, v4
	v_add_nc_u32_e32 v8, v8, v10
	v_mul_hi_u32 v10, v4, v9
	v_mul_lo_u32 v11, v4, v8
	v_mul_hi_u32 v12, v4, v8
	v_mul_hi_u32 v13, v7, v9
	v_mul_lo_u32 v9, v7, v9
	v_mul_hi_u32 v14, v7, v8
	v_mul_lo_u32 v8, v7, v8
	v_add_co_u32 v10, vcc_lo, v10, v11
	v_add_co_ci_u32_e32 v11, vcc_lo, 0, v12, vcc_lo
	v_add_co_u32 v9, vcc_lo, v10, v9
	v_add_co_ci_u32_e32 v9, vcc_lo, v11, v13, vcc_lo
	v_add_co_ci_u32_e32 v10, vcc_lo, 0, v14, vcc_lo
	v_add_co_u32 v8, vcc_lo, v9, v8
	v_add_co_ci_u32_e32 v9, vcc_lo, 0, v10, vcc_lo
	v_add_co_u32 v4, vcc_lo, v4, v8
	v_add_co_ci_u32_e32 v11, vcc_lo, v7, v9, vcc_lo
	v_mul_hi_u32 v13, v5, v4
	v_mad_u64_u32 v[9:10], null, v6, v4, 0
	v_mad_u64_u32 v[7:8], null, v5, v11, 0
	;; [unrolled: 1-line block ×3, first 2 shown]
	v_add_co_u32 v4, vcc_lo, v13, v7
	v_add_co_ci_u32_e32 v7, vcc_lo, 0, v8, vcc_lo
	v_add_co_u32 v4, vcc_lo, v4, v9
	v_add_co_ci_u32_e32 v4, vcc_lo, v7, v10, vcc_lo
	v_add_co_ci_u32_e32 v7, vcc_lo, 0, v12, vcc_lo
	v_add_co_u32 v4, vcc_lo, v4, v11
	v_add_co_ci_u32_e32 v9, vcc_lo, 0, v7, vcc_lo
	v_mul_lo_u32 v10, s25, v4
	v_mad_u64_u32 v[7:8], null, s24, v4, 0
	v_mul_lo_u32 v11, s24, v9
	v_sub_co_u32 v7, vcc_lo, v5, v7
	v_add3_u32 v8, v8, v11, v10
	v_sub_nc_u32_e32 v10, v6, v8
	v_subrev_co_ci_u32_e64 v10, s0, s25, v10, vcc_lo
	v_add_co_u32 v11, s0, v4, 2
	v_add_co_ci_u32_e64 v12, s0, 0, v9, s0
	v_sub_co_u32 v13, s0, v7, s24
	v_sub_co_ci_u32_e32 v8, vcc_lo, v6, v8, vcc_lo
	v_subrev_co_ci_u32_e64 v10, s0, 0, v10, s0
	v_cmp_le_u32_e32 vcc_lo, s24, v13
	v_cmp_eq_u32_e64 s0, s25, v8
	v_cndmask_b32_e64 v13, 0, -1, vcc_lo
	v_cmp_le_u32_e32 vcc_lo, s25, v10
	v_cndmask_b32_e64 v14, 0, -1, vcc_lo
	v_cmp_le_u32_e32 vcc_lo, s24, v7
	;; [unrolled: 2-line block ×3, first 2 shown]
	v_cndmask_b32_e64 v15, 0, -1, vcc_lo
	v_cmp_eq_u32_e32 vcc_lo, s25, v10
	v_cndmask_b32_e64 v7, v15, v7, s0
	v_cndmask_b32_e32 v10, v14, v13, vcc_lo
	v_add_co_u32 v13, vcc_lo, v4, 1
	v_add_co_ci_u32_e32 v14, vcc_lo, 0, v9, vcc_lo
	v_cmp_ne_u32_e32 vcc_lo, 0, v10
	v_cndmask_b32_e32 v8, v14, v12, vcc_lo
	v_cndmask_b32_e32 v10, v13, v11, vcc_lo
	v_cmp_ne_u32_e32 vcc_lo, 0, v7
	v_cndmask_b32_e32 v51, v9, v8, vcc_lo
	v_cndmask_b32_e32 v50, v4, v10, vcc_lo
.LBB0_4:                                ;   in Loop: Header=BB0_2 Depth=1
	s_andn2_saveexec_b32 s0, s1
	s_cbranch_execz .LBB0_6
; %bb.5:                                ;   in Loop: Header=BB0_2 Depth=1
	v_cvt_f32_u32_e32 v4, s24
	s_sub_i32 s1, 0, s24
	v_mov_b32_e32 v51, v3
	v_rcp_iflag_f32_e32 v4, v4
	v_mul_f32_e32 v4, 0x4f7ffffe, v4
	v_cvt_u32_f32_e32 v4, v4
	v_mul_lo_u32 v7, s1, v4
	v_mul_hi_u32 v7, v4, v7
	v_add_nc_u32_e32 v4, v4, v7
	v_mul_hi_u32 v4, v5, v4
	v_mul_lo_u32 v7, v4, s24
	v_add_nc_u32_e32 v8, 1, v4
	v_sub_nc_u32_e32 v7, v5, v7
	v_subrev_nc_u32_e32 v9, s24, v7
	v_cmp_le_u32_e32 vcc_lo, s24, v7
	v_cndmask_b32_e32 v7, v7, v9, vcc_lo
	v_cndmask_b32_e32 v4, v4, v8, vcc_lo
	v_cmp_le_u32_e32 vcc_lo, s24, v7
	v_add_nc_u32_e32 v8, 1, v4
	v_cndmask_b32_e32 v50, v4, v8, vcc_lo
.LBB0_6:                                ;   in Loop: Header=BB0_2 Depth=1
	s_or_b32 exec_lo, exec_lo, s0
	v_mul_lo_u32 v4, v51, s24
	v_mul_lo_u32 v9, v50, s25
	s_load_dwordx2 s[0:1], s[6:7], 0x0
	v_mad_u64_u32 v[7:8], null, v50, s24, 0
	s_load_dwordx2 s[24:25], s[2:3], 0x0
	s_add_u32 s22, s22, 1
	s_addc_u32 s23, s23, 0
	s_add_u32 s2, s2, 8
	s_addc_u32 s3, s3, 0
	s_add_u32 s6, s6, 8
	v_add3_u32 v4, v8, v9, v4
	v_sub_co_u32 v5, vcc_lo, v5, v7
	s_addc_u32 s7, s7, 0
	s_add_u32 s20, s20, 8
	v_sub_co_ci_u32_e32 v4, vcc_lo, v6, v4, vcc_lo
	s_addc_u32 s21, s21, 0
	s_waitcnt lgkmcnt(0)
	v_mul_lo_u32 v6, s0, v4
	v_mul_lo_u32 v7, s1, v5
	v_mad_u64_u32 v[1:2], null, s0, v5, v[1:2]
	v_mul_lo_u32 v4, s24, v4
	v_mul_lo_u32 v8, s25, v5
	v_mad_u64_u32 v[46:47], null, s24, v5, v[46:47]
	v_cmp_ge_u64_e64 s0, s[22:23], s[14:15]
	v_add3_u32 v2, v7, v2, v6
	v_add3_u32 v47, v8, v47, v4
	s_and_b32 vcc_lo, exec_lo, s0
	s_cbranch_vccnz .LBB0_9
; %bb.7:                                ;   in Loop: Header=BB0_2 Depth=1
	v_mov_b32_e32 v5, v50
	v_mov_b32_e32 v6, v51
	s_branch .LBB0_2
.LBB0_8:
	v_mov_b32_e32 v47, v2
	v_mov_b32_e32 v51, v6
	;; [unrolled: 1-line block ×4, first 2 shown]
.LBB0_9:
	s_load_dwordx2 s[0:1], s[4:5], 0x28
	v_mul_hi_u32 v3, 0x28f5c29, v0
	s_lshl_b64 s[4:5], s[14:15], 3
                                        ; implicit-def: $vgpr44
                                        ; implicit-def: $vgpr48
                                        ; implicit-def: $vgpr59
                                        ; implicit-def: $vgpr58
                                        ; implicit-def: $vgpr57
                                        ; implicit-def: $vgpr56
                                        ; implicit-def: $vgpr55
                                        ; implicit-def: $vgpr54
                                        ; implicit-def: $vgpr53
                                        ; implicit-def: $vgpr52
	s_add_u32 s2, s18, s4
	s_addc_u32 s3, s19, s5
	s_waitcnt lgkmcnt(0)
	v_cmp_gt_u64_e32 vcc_lo, s[0:1], v[50:51]
	v_cmp_le_u64_e64 s0, s[0:1], v[50:51]
	s_and_saveexec_b32 s1, s0
	s_xor_b32 s0, exec_lo, s1
; %bb.10:
	v_mul_u32_u24_e32 v1, 0x64, v3
                                        ; implicit-def: $vgpr3
	v_sub_nc_u32_e32 v44, v0, v1
                                        ; implicit-def: $vgpr0
                                        ; implicit-def: $vgpr1_vgpr2
	v_add_nc_u32_e32 v48, 0x64, v44
	v_add_nc_u32_e32 v59, 0xc8, v44
	;; [unrolled: 1-line block ×9, first 2 shown]
; %bb.11:
	s_andn2_saveexec_b32 s1, s0
	s_cbranch_execz .LBB0_13
; %bb.12:
	s_add_u32 s4, s16, s4
	s_addc_u32 s5, s17, s5
	v_lshlrev_b64 v[1:2], 3, v[1:2]
	s_load_dwordx2 s[4:5], s[4:5], 0x0
	s_waitcnt lgkmcnt(0)
	v_mul_lo_u32 v6, s5, v50
	v_mul_lo_u32 v7, s4, v51
	v_mad_u64_u32 v[4:5], null, s4, v50, 0
	v_add3_u32 v5, v5, v7, v6
	v_mul_u32_u24_e32 v6, 0x64, v3
	v_lshlrev_b64 v[3:4], 3, v[4:5]
	v_sub_nc_u32_e32 v44, v0, v6
	v_lshlrev_b32_e32 v45, 3, v44
	v_add_co_u32 v0, s0, s8, v3
	v_add_co_ci_u32_e64 v3, s0, s9, v4, s0
	v_add_nc_u32_e32 v48, 0x64, v44
	v_add_co_u32 v0, s0, v0, v1
	v_add_co_ci_u32_e64 v1, s0, v3, v2, s0
	v_add_nc_u32_e32 v59, 0xc8, v44
	v_add_co_u32 v0, s0, v0, v45
	v_add_co_ci_u32_e64 v1, s0, 0, v1, s0
	v_add_nc_u32_e32 v45, 0, v45
	v_add_co_u32 v2, s0, 0x800, v0
	v_add_co_ci_u32_e64 v3, s0, 0, v1, s0
	v_add_co_u32 v6, s0, 0x1000, v0
	v_add_co_ci_u32_e64 v7, s0, 0, v1, s0
	;; [unrolled: 2-line block ×10, first 2 shown]
	s_clause 0x3
	global_load_dwordx2 v[4:5], v[0:1], off
	global_load_dwordx2 v[20:21], v[2:3], off offset:352
	global_load_dwordx2 v[22:23], v[0:1], off offset:1600
	;; [unrolled: 1-line block ×3, first 2 shown]
	v_add_co_u32 v0, s0, 0x5800, v0
	v_add_co_ci_u32_e64 v1, s0, 0, v1, s0
	s_clause 0x19
	global_load_dwordx2 v[28:29], v[2:3], off offset:1152
	global_load_dwordx2 v[2:3], v[2:3], off offset:1952
	;; [unrolled: 1-line block ×26, first 2 shown]
	v_add_nc_u32_e32 v58, 0x12c, v44
	v_add_nc_u32_e32 v57, 0x190, v44
	;; [unrolled: 1-line block ×21, first 2 shown]
	s_waitcnt vmcnt(27)
	ds_write2_b64 v49, v[22:23], v[20:21] offset0:72 offset1:172
	s_waitcnt vmcnt(24)
	ds_write2_b64 v76, v[28:29], v[2:3] offset0:144 offset1:244
	;; [unrolled: 2-line block ×7, first 2 shown]
	ds_write2_b64 v45, v[4:5], v[24:25] offset1:100
	s_waitcnt vmcnt(12)
	ds_write2_b64 v82, v[60:61], v[14:15] offset0:64 offset1:164
	s_waitcnt vmcnt(10)
	ds_write2_b64 v83, v[62:63], v[64:65] offset0:8 offset1:108
	;; [unrolled: 2-line block ×7, first 2 shown]
.LBB0_13:
	s_or_b32 exec_lo, exec_lo, s1
	v_lshlrev_b32_e32 v45, 3, v44
	s_load_dwordx2 s[2:3], s[2:3], 0x0
	s_waitcnt lgkmcnt(0)
	s_barrier
	buffer_gl0_inv
	v_add_nc_u32_e32 v72, 0, v45
	v_mul_u32_u24_e32 v86, 10, v44
	s_add_u32 s1, s12, 0x5d70
	s_addc_u32 s4, s13, 0
	s_mov_b32 s5, exec_lo
	v_add_nc_u32_e32 v0, 0x1000, v72
	v_add_nc_u32_e32 v49, 0x4800, v72
	;; [unrolled: 1-line block ×8, first 2 shown]
	ds_read2_b64 v[12:15], v0 offset0:88 offset1:188
	ds_read2_b64 v[16:19], v85 offset0:48 offset1:148
	;; [unrolled: 1-line block ×8, first 2 shown]
	v_add_nc_u32_e32 v0, 0x400, v72
	ds_read2_b64 v[0:3], v0 offset0:72 offset1:172
	ds_read2_b64 v[4:7], v72 offset1:100
	v_lshl_add_u32 v86, v86, 3, 0
	v_add_nc_u32_e32 v93, 0x800, v72
	v_add_nc_u32_e32 v87, 0x5400, v72
	;; [unrolled: 1-line block ×5, first 2 shown]
	ds_read2_b64 v[94:97], v93 offset0:144 offset1:244
	ds_read2_b64 v[98:101], v92 offset0:104 offset1:204
	;; [unrolled: 1-line block ×5, first 2 shown]
	s_waitcnt lgkmcnt(0)
	v_add_f32_e32 v89, v12, v32
	v_sub_f32_e32 v67, v26, v30
	v_add_f32_e32 v40, v30, v22
	v_add_f32_e32 v41, v31, v23
	v_sub_f32_e32 v65, v27, v39
	v_sub_f32_e32 v68, v38, v22
	;; [unrolled: 1-line block ×4, first 2 shown]
	v_fma_f32 v40, -0.5, v40, v2
	v_fma_f32 v41, -0.5, v41, v3
	v_sub_f32_e32 v70, v27, v31
	v_sub_f32_e32 v71, v39, v23
	;; [unrolled: 1-line block ×3, first 2 shown]
	v_fmamk_f32 v78, v65, 0x3f737871, v40
	v_add_f32_e32 v69, v67, v68
	v_fmamk_f32 v83, v64, 0xbf737871, v41
	v_sub_f32_e32 v62, v13, v17
	v_sub_f32_e32 v63, v33, v9
	v_fmac_f32_e32 v78, 0x3f167918, v61
	v_add_f32_e32 v73, v4, v12
	v_add_f32_e32 v74, v70, v71
	v_fmac_f32_e32 v83, 0xbf167918, v60
	v_sub_f32_e32 v42, v12, v16
	v_fmac_f32_e32 v78, 0x3e9e377a, v69
	v_sub_f32_e32 v43, v32, v8
	v_add_f32_e32 v75, v16, v8
	v_add_f32_e32 v76, v5, v13
	;; [unrolled: 1-line block ×4, first 2 shown]
	v_fmac_f32_e32 v83, 0x3e9e377a, v74
	v_mul_f32_e32 v62, 0x3f4f1bbd, v78
	v_mul_f32_e32 v63, 0xbf167918, v78
	v_add_f32_e32 v84, v17, v9
	v_add_f32_e32 v67, v42, v43
	;; [unrolled: 1-line block ×3, first 2 shown]
	v_fma_f32 v42, -0.5, v75, v4
	v_add_f32_e32 v75, v76, v17
	v_fmac_f32_e32 v62, 0x3f167918, v83
	v_fmac_f32_e32 v63, 0x3f4f1bbd, v83
	v_sub_f32_e32 v76, v17, v9
	v_sub_f32_e32 v83, v16, v8
	v_fma_f32 v89, -0.5, v89, v4
	v_sub_f32_e32 v4, v16, v12
	v_sub_f32_e32 v8, v8, v32
	;; [unrolled: 1-line block ×3, first 2 shown]
	v_add_f32_e32 v70, v43, v32
	v_fma_f32 v43, -0.5, v84, v5
	v_sub_f32_e32 v84, v12, v32
	v_fmamk_f32 v12, v76, 0xbf737871, v89
	v_fmac_f32_e32 v89, 0x3f737871, v76
	v_add_f32_e32 v4, v4, v8
	v_add_f32_e32 v8, v13, v33
	;; [unrolled: 1-line block ×4, first 2 shown]
	v_fmac_f32_e32 v12, 0x3f167918, v66
	v_fmac_f32_e32 v89, 0xbf167918, v66
	v_sub_f32_e32 v13, v17, v13
	v_sub_f32_e32 v9, v9, v33
	v_fma_f32 v17, -0.5, v8, v5
	v_add_f32_e32 v5, v27, v39
	v_add_f32_e32 v8, v26, v38
	;; [unrolled: 1-line block ×4, first 2 shown]
	v_fmac_f32_e32 v12, 0x3e9e377a, v4
	v_fmac_f32_e32 v89, 0x3e9e377a, v4
	v_add_f32_e32 v4, v13, v9
	v_sub_f32_e32 v9, v30, v26
	v_fma_f32 v3, -0.5, v5, v3
	v_sub_f32_e32 v5, v22, v38
	v_fma_f32 v2, -0.5, v8, v2
	v_add_f32_e32 v78, v78, v22
	v_sub_f32_e32 v8, v31, v27
	v_sub_f32_e32 v16, v23, v39
	v_fmamk_f32 v22, v60, 0x3f737871, v3
	v_add_f32_e32 v5, v9, v5
	v_fmamk_f32 v9, v61, 0xbf737871, v2
	v_fmac_f32_e32 v2, 0x3f737871, v61
	v_fmac_f32_e32 v3, 0xbf737871, v60
	v_fmamk_f32 v13, v83, 0x3f737871, v17
	v_fmac_f32_e32 v17, 0xbf737871, v83
	v_add_f32_e32 v8, v8, v16
	v_fmac_f32_e32 v22, 0xbf167918, v64
	v_fmac_f32_e32 v9, 0x3f167918, v65
	;; [unrolled: 1-line block ×6, first 2 shown]
	v_add_f32_e32 v80, v73, v31
	v_fmac_f32_e32 v13, 0xbf167918, v84
	v_fmac_f32_e32 v17, 0x3f167918, v84
	;; [unrolled: 1-line block ×8, first 2 shown]
	v_fmamk_f32 v71, v66, 0x3f737871, v42
	v_fmamk_f32 v73, v84, 0xbf737871, v43
	v_add_f32_e32 v80, v80, v23
	v_fmac_f32_e32 v13, 0x3e9e377a, v4
	v_mul_f32_e32 v16, 0x3f737871, v22
	v_mul_f32_e32 v23, 0xbf737871, v9
	v_fmac_f32_e32 v17, 0x3e9e377a, v4
	v_mul_f32_e32 v4, 0x3e9e377a, v2
	v_mul_f32_e32 v5, 0x3e9e377a, v3
	v_fmac_f32_e32 v42, 0xbf737871, v66
	v_fmac_f32_e32 v43, 0x3f737871, v84
	v_fmac_f32_e32 v40, 0x3e9e377a, v69
	v_fmac_f32_e32 v41, 0x3e9e377a, v74
	v_fmac_f32_e32 v71, 0x3f167918, v76
	v_fmac_f32_e32 v73, 0xbf167918, v83
	v_fmac_f32_e32 v16, 0x3e9e377a, v9
	v_fmac_f32_e32 v23, 0x3e9e377a, v22
	v_fma_f32 v22, 0x3f737871, v3, -v4
	v_fma_f32 v26, 0xbf737871, v2, -v5
	v_fmac_f32_e32 v42, 0xbf167918, v76
	v_fmac_f32_e32 v43, 0x3f167918, v83
	v_mul_f32_e32 v8, 0x3f4f1bbd, v40
	v_mul_f32_e32 v9, 0x3f4f1bbd, v41
	v_add_f32_e32 v75, v75, v33
	v_add_f32_e32 v78, v78, v38
	;; [unrolled: 1-line block ×3, first 2 shown]
	v_fmac_f32_e32 v71, 0x3e9e377a, v67
	v_fmac_f32_e32 v73, 0x3e9e377a, v68
	v_add_f32_e32 v2, v12, v16
	v_add_f32_e32 v3, v13, v23
	;; [unrolled: 1-line block ×4, first 2 shown]
	v_fmac_f32_e32 v42, 0x3e9e377a, v67
	v_fmac_f32_e32 v43, 0x3e9e377a, v68
	v_fma_f32 v27, 0x3f167918, v41, -v8
	v_fma_f32 v30, 0xbf167918, v40, -v9
	v_add_f32_e32 v114, v70, v78
	v_add_f32_e32 v115, v75, v80
	v_add_f32_e32 v116, v71, v62
	v_add_f32_e32 v117, v73, v63
	s_barrier
	buffer_gl0_inv
	ds_write2_b64 v86, v[2:3], v[4:5] offset0:2 offset1:3
	v_sub_f32_e32 v2, v70, v78
	v_sub_f32_e32 v3, v75, v80
	v_add_f32_e32 v4, v42, v27
	v_add_f32_e32 v5, v43, v30
	v_sub_f32_e32 v12, v12, v16
	v_sub_f32_e32 v16, v89, v22
	;; [unrolled: 1-line block ×4, first 2 shown]
	v_add_f32_e32 v26, v6, v14
	v_add_f32_e32 v27, v7, v15
	v_sub_f32_e32 v8, v71, v62
	v_sub_f32_e32 v9, v73, v63
	;; [unrolled: 1-line block ×4, first 2 shown]
	ds_write2_b64 v86, v[114:115], v[116:117] offset1:1
	ds_write2_b64 v86, v[4:5], v[2:3] offset0:4 offset1:5
	ds_write2_b64 v86, v[8:9], v[12:13] offset0:6 offset1:7
	;; [unrolled: 1-line block ×3, first 2 shown]
	v_add_f32_e32 v2, v26, v18
	v_add_f32_e32 v3, v27, v19
	;; [unrolled: 1-line block ×14, first 2 shown]
	v_sub_f32_e32 v8, v19, v11
	v_sub_f32_e32 v5, v14, v18
	;; [unrolled: 1-line block ×3, first 2 shown]
	v_add_f32_e32 v2, v2, v20
	v_add_f32_e32 v3, v3, v21
	v_add_f32_e32 v12, v19, v11
	v_sub_f32_e32 v13, v18, v10
	v_sub_f32_e32 v16, v15, v19
	;; [unrolled: 1-line block ×4, first 2 shown]
	v_add_f32_e32 v19, v14, v34
	v_sub_f32_e32 v14, v14, v34
	v_add_f32_e32 v15, v15, v35
	v_sub_f32_e32 v22, v34, v10
	v_sub_f32_e32 v10, v10, v34
	v_sub_f32_e32 v23, v35, v11
	v_sub_f32_e32 v11, v11, v35
	v_add_f32_e32 v26, v28, v20
	v_sub_f32_e32 v27, v29, v21
	v_sub_f32_e32 v32, v24, v28
	;; [unrolled: 1-line block ×3, first 2 shown]
	v_add_f32_e32 v34, v29, v21
	v_sub_f32_e32 v28, v28, v20
	v_sub_f32_e32 v35, v25, v29
	;; [unrolled: 1-line block ×4, first 2 shown]
	v_add_f32_e32 v39, v24, v36
	v_sub_f32_e32 v24, v24, v36
	v_add_f32_e32 v25, v25, v37
	v_sub_f32_e32 v40, v36, v20
	v_sub_f32_e32 v20, v20, v36
	;; [unrolled: 1-line block ×4, first 2 shown]
	v_add_f32_e32 v36, v2, v36
	v_add_f32_e32 v2, v94, v98
	;; [unrolled: 1-line block ×9, first 2 shown]
	v_sub_f32_e32 v80, v99, v111
	v_sub_f32_e32 v61, v103, v107
	v_fma_f32 v60, -0.5, v60, v94
	v_sub_f32_e32 v62, v98, v102
	v_sub_f32_e32 v63, v102, v98
	;; [unrolled: 1-line block ×8, first 2 shown]
	v_add_f32_e32 v86, v99, v111
	v_sub_f32_e32 v89, v101, v113
	v_add_f32_e32 v99, v101, v113
	v_add_f32_e32 v2, v2, v106
	;; [unrolled: 1-line block ×3, first 2 shown]
	v_sub_f32_e32 v73, v110, v106
	v_sub_f32_e32 v101, v111, v107
	;; [unrolled: 1-line block ×3, first 2 shown]
	v_fma_f32 v64, -0.5, v64, v95
	v_fmamk_f32 v107, v80, 0x3f737871, v60
	v_add_f32_e32 v68, v104, v108
	v_sub_f32_e32 v70, v100, v104
	v_sub_f32_e32 v71, v104, v100
	;; [unrolled: 1-line block ×3, first 2 shown]
	v_add_f32_e32 v83, v98, v110
	v_add_f32_e32 v91, v100, v112
	v_sub_f32_e32 v98, v100, v112
	v_add_f32_e32 v42, v42, v108
	v_sub_f32_e32 v100, v106, v110
	v_sub_f32_e32 v103, v112, v108
	;; [unrolled: 1-line block ×3, first 2 shown]
	v_add_f32_e32 v108, v2, v110
	v_fmamk_f32 v2, v84, 0xbf737871, v64
	v_add_f32_e32 v62, v62, v73
	v_fmac_f32_e32 v107, 0x3f167918, v61
	v_add_f32_e32 v66, v66, v101
	v_fma_f32 v101, -0.5, v4, v6
	v_fma_f32 v110, -0.5, v12, v7
	v_sub_f32_e32 v69, v105, v109
	v_add_f32_e32 v74, v105, v109
	v_add_f32_e32 v43, v43, v109
	v_sub_f32_e32 v105, v113, v109
	v_sub_f32_e32 v106, v109, v113
	v_add_f32_e32 v109, v3, v111
	v_fmac_f32_e32 v2, 0xbf167918, v65
	v_fmac_f32_e32 v107, 0x3e9e377a, v62
	v_add_f32_e32 v12, v5, v22
	v_fmamk_f32 v22, v18, 0x3f737871, v101
	v_fmamk_f32 v111, v14, 0xbf737871, v110
	v_fmac_f32_e32 v2, 0x3e9e377a, v66
	v_mul_f32_e32 v114, 0x3f4f1bbd, v107
	v_mul_f32_e32 v107, 0xbf167918, v107
	v_add_f32_e32 v16, v16, v23
	v_fmac_f32_e32 v22, 0x3f167918, v8
	v_fmac_f32_e32 v111, 0xbf167918, v13
	;; [unrolled: 1-line block ×4, first 2 shown]
	v_fma_f32 v6, -0.5, v19, v6
	v_fmac_f32_e32 v22, 0x3e9e377a, v12
	v_fmac_f32_e32 v111, 0x3e9e377a, v16
	v_mul_i32_i24_e32 v19, 10, v48
	v_add_f32_e32 v2, v30, v108
	v_add_f32_e32 v3, v31, v109
	;; [unrolled: 1-line block ×4, first 2 shown]
	v_lshl_add_u32 v73, v19, 3, 0
	v_add_f32_e32 v23, v42, v112
	v_fmamk_f32 v42, v8, 0xbf737871, v6
	v_fmac_f32_e32 v6, 0x3f737871, v8
	v_add_f32_e32 v9, v9, v10
	ds_write2_b64 v73, v[2:3], v[4:5] offset1:1
	v_fma_f32 v2, -0.5, v86, v95
	v_fma_f32 v4, -0.5, v83, v94
	v_fmac_f32_e32 v42, 0x3f167918, v18
	v_fmac_f32_e32 v6, 0xbf167918, v18
	v_fmac_f32_e32 v7, -0.5, v15
	v_fmamk_f32 v5, v65, 0x3f737871, v2
	v_fmamk_f32 v10, v61, 0xbf737871, v4
	v_fmac_f32_e32 v4, 0x3f737871, v61
	v_fmac_f32_e32 v2, 0xbf737871, v65
	;; [unrolled: 1-line block ×4, first 2 shown]
	v_fmamk_f32 v15, v13, 0x3f737871, v7
	v_add_f32_e32 v3, v17, v11
	v_fmac_f32_e32 v7, 0xbf737871, v13
	v_add_f32_e32 v9, v63, v100
	v_add_f32_e32 v11, v67, v102
	v_fmac_f32_e32 v5, 0xbf167918, v84
	v_fmac_f32_e32 v10, 0x3f167918, v80
	;; [unrolled: 1-line block ×15, first 2 shown]
	v_mul_f32_e32 v17, 0x3f737871, v5
	v_mul_f32_e32 v11, 0xbf737871, v10
	v_fmac_f32_e32 v7, 0x3e9e377a, v3
	v_mul_f32_e32 v3, 0x3e9e377a, v4
	v_mul_f32_e32 v9, 0x3e9e377a, v2
	v_fmac_f32_e32 v101, 0xbf737871, v18
	v_fmac_f32_e32 v110, 0x3f737871, v14
	;; [unrolled: 1-line block ×4, first 2 shown]
	v_add_f32_e32 v19, v43, v113
	v_fmac_f32_e32 v17, 0x3e9e377a, v10
	v_fmac_f32_e32 v11, 0x3e9e377a, v5
	v_fma_f32 v43, 0x3f737871, v2, -v3
	v_fma_f32 v63, 0xbf737871, v4, -v9
	v_fmac_f32_e32 v101, 0xbf167918, v8
	v_fmac_f32_e32 v110, 0x3f167918, v13
	v_mul_f32_e32 v8, 0x3f4f1bbd, v60
	v_mul_f32_e32 v9, 0x3f4f1bbd, v64
	v_add_f32_e32 v2, v42, v17
	v_add_f32_e32 v3, v15, v11
	;; [unrolled: 1-line block ×4, first 2 shown]
	v_fmac_f32_e32 v101, 0x3e9e377a, v12
	v_fmac_f32_e32 v110, 0x3e9e377a, v16
	v_fma_f32 v12, 0x3f167918, v64, -v8
	v_fma_f32 v13, 0xbf167918, v60, -v9
	ds_write2_b64 v73, v[2:3], v[4:5] offset0:2 offset1:3
	v_sub_f32_e32 v2, v30, v108
	v_sub_f32_e32 v3, v31, v109
	v_add_f32_e32 v4, v101, v12
	v_add_f32_e32 v5, v110, v13
	v_sub_f32_e32 v8, v22, v114
	v_sub_f32_e32 v9, v111, v107
	;; [unrolled: 1-line block ×4, first 2 shown]
	ds_write2_b64 v73, v[4:5], v[2:3] offset0:4 offset1:5
	v_fma_f32 v3, -0.5, v26, v0
	v_sub_f32_e32 v7, v7, v63
	v_sub_f32_e32 v6, v6, v43
	;; [unrolled: 1-line block ×4, first 2 shown]
	ds_write2_b64 v73, v[8:9], v[10:11] offset0:6 offset1:7
	ds_write2_b64 v73, v[6:7], v[12:13] offset0:8 offset1:9
	v_fma_f32 v0, -0.5, v39, v0
	v_fmamk_f32 v10, v38, 0x3f737871, v3
	v_fmac_f32_e32 v3, 0xbf737871, v38
	v_fma_f32 v14, -0.5, v91, v96
	v_fma_f32 v16, -0.5, v74, v97
	v_fmamk_f32 v26, v27, 0xbf737871, v0
	v_fmac_f32_e32 v0, 0x3f737871, v27
	v_fmac_f32_e32 v10, 0x3f167918, v27
	;; [unrolled: 1-line block ×3, first 2 shown]
	v_fma_f32 v27, -0.5, v34, v1
	v_fmac_f32_e32 v97, -0.5, v99
	v_fmamk_f32 v17, v69, 0xbf737871, v14
	v_fmac_f32_e32 v14, 0x3f737871, v69
	v_fma_f32 v9, -0.5, v68, v96
	v_add_f32_e32 v5, v32, v40
	v_add_f32_e32 v6, v33, v20
	v_fmamk_f32 v20, v24, 0xbf737871, v27
	v_fmac_f32_e32 v27, 0x3f737871, v24
	v_fmac_f32_e32 v1, -0.5, v25
	v_add_f32_e32 v15, v71, v104
	v_fmamk_f32 v18, v75, 0x3f737871, v97
	v_fmac_f32_e32 v97, 0xbf737871, v75
	v_fmac_f32_e32 v14, 0xbf167918, v89
	;; [unrolled: 1-line block ×6, first 2 shown]
	v_add_f32_e32 v5, v35, v41
	v_fmac_f32_e32 v20, 0xbf167918, v28
	v_fmac_f32_e32 v27, 0x3f167918, v28
	v_fmamk_f32 v25, v28, 0x3f737871, v1
	v_fmac_f32_e32 v1, 0xbf737871, v28
	v_fmamk_f32 v7, v89, 0x3f737871, v9
	v_add_f32_e32 v22, v78, v106
	v_fmac_f32_e32 v97, 0x3f167918, v98
	v_fmac_f32_e32 v14, 0x3e9e377a, v15
	;; [unrolled: 1-line block ×6, first 2 shown]
	v_add_f32_e32 v5, v29, v21
	v_fmac_f32_e32 v9, 0xbf737871, v89
	v_fmac_f32_e32 v25, 0xbf167918, v24
	;; [unrolled: 1-line block ×3, first 2 shown]
	v_add_f32_e32 v6, v70, v103
	v_fmac_f32_e32 v7, 0x3f167918, v69
	v_fmamk_f32 v8, v98, 0xbf737871, v16
	v_fmac_f32_e32 v97, 0x3e9e377a, v22
	v_mul_f32_e32 v2, 0x3e9e377a, v14
	v_fmac_f32_e32 v9, 0xbf167918, v69
	v_fmac_f32_e32 v25, 0x3e9e377a, v5
	;; [unrolled: 1-line block ×4, first 2 shown]
	v_add_f32_e32 v5, v76, v105
	v_fmac_f32_e32 v8, 0xbf167918, v75
	v_fmac_f32_e32 v16, 0x3f737871, v98
	;; [unrolled: 1-line block ×4, first 2 shown]
	v_fma_f32 v4, 0x3f737871, v97, -v2
	v_mul_f32_e32 v2, 0x3e9e377a, v97
	v_fmac_f32_e32 v9, 0x3e9e377a, v6
	v_fmac_f32_e32 v8, 0x3e9e377a, v5
	;; [unrolled: 1-line block ×3, first 2 shown]
	v_mul_f32_e32 v21, 0x3f4f1bbd, v7
	v_mul_f32_e32 v24, 0xbf167918, v7
	v_fmac_f32_e32 v18, 0x3e9e377a, v22
	v_fmac_f32_e32 v17, 0x3e9e377a, v15
	v_fma_f32 v6, 0xbf737871, v14, -v2
	v_fmac_f32_e32 v16, 0x3e9e377a, v5
	v_fmac_f32_e32 v21, 0x3f167918, v8
	;; [unrolled: 1-line block ×3, first 2 shown]
	v_mul_f32_e32 v8, 0x3f4f1bbd, v9
	v_mul_f32_e32 v22, 0x3f737871, v18
	;; [unrolled: 1-line block ×3, first 2 shown]
	v_add_f32_e32 v2, v1, v6
	v_sub_f32_e32 v6, v1, v6
	v_add_f32_e32 v1, v0, v4
	v_sub_f32_e32 v5, v0, v4
	v_fma_f32 v0, 0x3f167918, v16, -v8
	v_mul_f32_e32 v16, 0x3f4f1bbd, v16
	v_and_b32_e32 v4, 0xff, v48
	v_fmac_f32_e32 v22, 0x3e9e377a, v17
	v_add_f32_e32 v11, v10, v21
	v_sub_f32_e32 v17, v10, v21
	v_mul_i32_i24_e32 v21, 10, v59
	v_mov_b32_e32 v64, 0xcccd
	v_fmac_f32_e32 v28, 0x3e9e377a, v18
	v_add_f32_e32 v7, v36, v23
	v_sub_f32_e32 v13, v36, v23
	v_fma_f32 v9, 0xbf167918, v9, -v16
	v_mul_lo_u16 v23, 0xcd, v4
	v_add_f32_e32 v8, v37, v19
	v_sub_f32_e32 v14, v37, v19
	v_add_f32_e32 v15, v26, v22
	v_add_f32_e32 v12, v20, v24
	v_sub_f32_e32 v19, v26, v22
	v_sub_f32_e32 v18, v20, v24
	v_add_f32_e32 v22, v3, v0
	v_lshl_add_u32 v74, v21, 3, 0
	v_sub_f32_e32 v24, v3, v0
	v_mul_u32_u24_sdwa v0, v59, v64 dst_sel:DWORD dst_unused:UNUSED_PAD src0_sel:WORD_0 src1_sel:DWORD
	v_add_f32_e32 v16, v25, v28
	v_lshrrev_b16 v10, 11, v23
	v_add_f32_e32 v23, v27, v9
	v_sub_f32_e32 v20, v25, v28
	v_sub_f32_e32 v25, v27, v9
	ds_write2_b64 v74, v[7:8], v[11:12] offset1:1
	ds_write2_b64 v74, v[15:16], v[1:2] offset0:2 offset1:3
	ds_write2_b64 v74, v[22:23], v[13:14] offset0:4 offset1:5
	v_lshrrev_b32_e32 v14, 19, v0
	v_mul_u32_u24_sdwa v1, v58, v64 dst_sel:DWORD dst_unused:UNUSED_PAD src0_sel:WORD_0 src1_sel:DWORD
	v_mul_lo_u16 v26, v10, 10
	ds_write2_b64 v74, v[5:6], v[24:25] offset0:8 offset1:9
	v_mov_b32_e32 v75, 4
	v_mul_lo_u16 v5, v14, 10
	v_lshrrev_b32_e32 v12, 19, v1
	v_sub_nc_u16 v21, v48, v26
	ds_write2_b64 v74, v[17:18], v[19:20] offset0:6 offset1:7
	s_waitcnt lgkmcnt(0)
	v_sub_nc_u16 v23, v59, v5
	v_mul_lo_u16 v5, v12, 10
	v_lshlrev_b32_sdwa v0, v75, v21 dst_sel:DWORD dst_unused:UNUSED_PAD src0_sel:DWORD src1_sel:BYTE_0
	s_barrier
	buffer_gl0_inv
	v_mul_u32_u24_sdwa v6, v57, v64 dst_sel:DWORD dst_unused:UNUSED_PAD src0_sel:WORD_0 src1_sel:DWORD
	v_sub_nc_u16 v22, v58, v5
	v_mul_u32_u24_sdwa v5, v56, v64 dst_sel:DWORD dst_unused:UNUSED_PAD src0_sel:WORD_0 src1_sel:DWORD
	global_load_dwordx4 v[0:3], v0, s[12:13]
	v_lshlrev_b32_sdwa v7, v75, v23 dst_sel:DWORD dst_unused:UNUSED_PAD src0_sel:DWORD src1_sel:WORD_0
	v_lshrrev_b32_e32 v13, 19, v6
	v_lshl_add_u32 v86, v58, 3, 0
	v_lshrrev_b32_e32 v9, 19, v5
	v_mul_u32_u24_sdwa v5, v55, v64 dst_sel:DWORD dst_unused:UNUSED_PAD src0_sel:WORD_0 src1_sel:DWORD
	global_load_dwordx4 v[24:27], v7, s[12:13]
	v_mul_lo_u16 v6, v13, 10
	v_lshlrev_b32_sdwa v7, v75, v22 dst_sel:DWORD dst_unused:UNUSED_PAD src0_sel:DWORD src1_sel:WORD_0
	v_mad_i32_i24 v91, 0xffffffb8, v48, v73
	v_lshrrev_b32_e32 v11, 19, v5
	v_mul_u32_u24_sdwa v5, v54, v64 dst_sel:DWORD dst_unused:UNUSED_PAD src0_sel:WORD_0 src1_sel:DWORD
	v_sub_nc_u16 v20, v57, v6
	v_mul_lo_u16 v6, v9, 10
	global_load_dwordx4 v[28:31], v7, s[12:13]
	v_mad_i32_i24 v89, 0xffffffb8, v59, v74
	v_lshrrev_b32_e32 v8, 19, v5
	v_lshl_add_u32 v84, v56, 3, 0
	v_sub_nc_u16 v18, v56, v6
	v_mul_lo_u16 v6, v11, 10
	v_lshl_add_u32 v83, v55, 3, 0
	v_mul_lo_u16 v5, v8, 10
	v_mul_u32_u24_e32 v14, 0xf0, v14
	v_mul_u32_u24_e32 v12, 0xf0, v12
	v_sub_nc_u16 v16, v55, v6
	v_mul_u32_u24_sdwa v6, v53, v64 dst_sel:DWORD dst_unused:UNUSED_PAD src0_sel:WORD_0 src1_sel:DWORD
	v_sub_nc_u16 v15, v54, v5
	v_and_b32_e32 v5, 0xff, v44
	v_mul_u32_u24_e32 v11, 0xf0, v11
	v_mul_u32_u24_e32 v8, 0xf0, v8
	v_lshrrev_b32_e32 v17, 19, v6
	v_mul_lo_u16 v4, 0x89, v4
	v_mul_lo_u16 v65, 0xcd, v5
	;; [unrolled: 1-line block ×3, first 2 shown]
	v_lshrrev_b16 v76, 11, v65
	v_sub_nc_u16 v19, v53, v6
	v_mul_u32_u24_sdwa v6, v52, v64 dst_sel:DWORD dst_unused:UNUSED_PAD src0_sel:WORD_0 src1_sel:DWORD
	v_mul_lo_u16 v68, v76, 10
	v_lshrrev_b32_e32 v6, 19, v6
	v_sub_nc_u16 v78, v44, v68
	v_lshlrev_b32_sdwa v68, v75, v78 dst_sel:DWORD dst_unused:UNUSED_PAD src0_sel:DWORD src1_sel:BYTE_0
	global_load_dwordx4 v[68:71], v68, s[12:13]
	v_lshlrev_b32_sdwa v7, v75, v20 dst_sel:DWORD dst_unused:UNUSED_PAD src0_sel:DWORD src1_sel:WORD_0
	global_load_dwordx4 v[32:35], v7, s[12:13]
	v_lshlrev_b32_sdwa v7, v75, v18 dst_sel:DWORD dst_unused:UNUSED_PAD src0_sel:DWORD src1_sel:WORD_0
	;; [unrolled: 2-line block ×5, first 2 shown]
	global_load_dwordx4 v[64:67], v7, s[12:13]
	v_mul_lo_u16 v7, v6, 10
	v_mul_u32_u24_e32 v6, 0xf0, v6
	v_sub_nc_u16 v7, v52, v7
	v_lshlrev_b32_sdwa v75, v75, v7 dst_sel:DWORD dst_unused:UNUSED_PAD src0_sel:DWORD src1_sel:WORD_0
	global_load_dwordx4 v[94:97], v75, s[12:13]
	v_add_nc_u32_e32 v75, 0x2000, v72
	ds_read2_b64 v[98:101], v75 offset0:76 offset1:176
	ds_read2_b64 v[102:105], v88 offset0:52 offset1:152
	v_add_nc_u32_e32 v75, 0x4400, v72
	ds_read2_b64 v[106:109], v81 offset0:20 offset1:120
	ds_read2_b64 v[110:113], v75 offset0:124 offset1:224
	v_lshl_add_u32 v75, v57, 3, 0
	s_waitcnt vmcnt(9) lgkmcnt(3)
	v_mul_f32_e32 v80, v99, v1
	v_mul_f32_e32 v114, v98, v1
	s_waitcnt lgkmcnt(2)
	v_mul_f32_e32 v1, v103, v3
	v_mul_f32_e32 v115, v102, v3
	v_fma_f32 v116, v98, v0, -v80
	v_fmac_f32_e32 v114, v99, v0
	v_fma_f32 v117, v102, v2, -v1
	v_fmac_f32_e32 v115, v103, v2
	s_waitcnt vmcnt(8)
	v_mul_f32_e32 v0, v101, v25
	v_mul_f32_e32 v118, v100, v25
	v_mul_f32_e32 v1, v105, v27
	v_add_nc_u32_e32 v2, 0x2c00, v72
	v_mul_f32_e32 v119, v104, v27
	v_fma_f32 v120, v100, v24, -v0
	v_fmac_f32_e32 v118, v101, v24
	v_add_nc_u32_e32 v24, 0x4c00, v72
	v_fma_f32 v121, v104, v26, -v1
	ds_read2_b64 v[0:3], v2 offset0:92 offset1:192
	v_fmac_f32_e32 v119, v105, v26
	s_waitcnt vmcnt(7) lgkmcnt(1)
	v_mul_f32_e32 v123, v110, v31
	ds_read2_b64 v[98:101], v24 offset0:68 offset1:168
	v_mul_f32_e32 v24, v111, v31
	v_add_nc_u32_e32 v26, 0x3400, v72
	v_mul_f32_e32 v25, v107, v29
	v_mul_f32_e32 v122, v106, v29
	v_fmac_f32_e32 v123, v111, v30
	v_fma_f32 v110, v110, v30, -v24
	ds_read2_b64 v[102:105], v26 offset0:36 offset1:136
	v_fma_f32 v124, v106, v28, -v25
	v_fmac_f32_e32 v122, v107, v28
	v_lshl_add_u32 v80, v54, 3, 0
	s_waitcnt vmcnt(5)
	v_mul_f32_e32 v24, v109, v33
	v_mul_f32_e32 v111, v108, v33
	;; [unrolled: 1-line block ×4, first 2 shown]
	v_fma_f32 v125, v108, v32, -v24
	s_waitcnt vmcnt(4) lgkmcnt(2)
	v_mul_f32_e32 v24, v1, v37
	v_mul_f32_e32 v127, v0, v37
	v_fmac_f32_e32 v111, v109, v32
	ds_read2_b64 v[106:109], v82 offset0:140 offset1:240
	v_fma_f32 v112, v112, v34, -v25
	v_fma_f32 v128, v0, v36, -v24
	v_fmac_f32_e32 v127, v1, v36
	s_waitcnt vmcnt(3)
	v_mul_f32_e32 v0, v3, v41
	v_mul_f32_e32 v30, v2, v41
	s_waitcnt lgkmcnt(2)
	v_mul_f32_e32 v1, v101, v43
	v_fmac_f32_e32 v126, v113, v34
	ds_read2_b32 v[33:34], v92 offset0:208 offset1:209
	v_fma_f32 v31, v2, v40, -v0
	v_fmac_f32_e32 v30, v3, v40
	v_fma_f32 v32, v100, v42, -v1
	ds_read2_b64 v[0:3], v79 offset0:108 offset1:208
	v_mul_f32_e32 v25, v99, v39
	v_mul_f32_e32 v113, v98, v39
	;; [unrolled: 1-line block ×3, first 2 shown]
	s_waitcnt vmcnt(1) lgkmcnt(3)
	v_mul_f32_e32 v37, v105, v65
	ds_read_b64 v[35:36], v72 offset:23200
	v_fma_f32 v98, v98, v38, -v25
	v_fmac_f32_e32 v113, v99, v38
	v_fmac_f32_e32 v29, v101, v42
	v_mul_f32_e32 v24, v103, v61
	v_mul_f32_e32 v25, v102, v61
	s_waitcnt lgkmcnt(3)
	v_mul_f32_e32 v28, v107, v63
	v_mul_f32_e32 v26, v106, v63
	v_fma_f32 v99, v104, v64, -v37
	ds_read_b64 v[37:38], v75
	ds_read_b64 v[39:40], v86
	;; [unrolled: 1-line block ×3, first 2 shown]
	v_fma_f32 v27, v102, v60, -v24
	v_fmac_f32_e32 v25, v103, v60
	v_fma_f32 v28, v106, v62, -v28
	v_fmac_f32_e32 v26, v107, v62
	s_waitcnt lgkmcnt(5)
	v_mul_f32_e32 v60, v34, v69
	s_waitcnt lgkmcnt(4)
	v_mul_f32_e32 v62, v3, v71
	v_mul_f32_e32 v61, v69, v33
	;; [unrolled: 1-line block ×3, first 2 shown]
	s_waitcnt vmcnt(0)
	v_mul_f32_e32 v101, v0, v95
	v_fma_f32 v33, v68, v33, -v60
	v_mul_f32_e32 v60, v1, v95
	v_fma_f32 v2, v2, v70, -v62
	v_fmac_f32_e32 v61, v34, v68
	v_fmac_f32_e32 v63, v3, v70
	s_waitcnt lgkmcnt(3)
	v_mul_f32_e32 v3, v36, v97
	v_fma_f32 v103, v0, v94, -v60
	v_add_f32_e32 v0, v33, v2
	v_mul_f32_e32 v24, v104, v65
	v_fmac_f32_e32 v101, v1, v94
	v_fma_f32 v104, v35, v96, -v3
	s_waitcnt lgkmcnt(0)
	v_add_f32_e32 v1, v41, v33
	v_fma_f32 v41, -0.5, v0, v41
	v_add_f32_e32 v0, v61, v63
	v_add_f32_e32 v3, v42, v61
	v_sub_f32_e32 v71, v61, v63
	ds_read_b64 v[60:61], v91
	v_mul_f32_e32 v97, v35, v97
	v_mov_b32_e32 v70, 0xf0
	v_mov_b32_e32 v94, 3
	v_mul_f32_e32 v43, v109, v67
	v_mul_f32_e32 v100, v108, v67
	v_fmac_f32_e32 v97, v36, v96
	v_mul_u32_u24_sdwa v35, v76, v70 dst_sel:DWORD dst_unused:UNUSED_PAD src0_sel:WORD_0 src1_sel:DWORD
	v_lshlrev_b32_sdwa v36, v94, v78 dst_sel:DWORD dst_unused:UNUSED_PAD src0_sel:DWORD src1_sel:BYTE_0
	v_fmac_f32_e32 v42, -0.5, v0
	v_sub_f32_e32 v95, v33, v2
	v_lshl_add_u32 v78, v53, 3, 0
	v_fmac_f32_e32 v24, v105, v64
	v_fma_f32 v43, v108, v66, -v43
	v_fmac_f32_e32 v100, v109, v66
	v_add_f32_e32 v33, v1, v2
	v_add_f32_e32 v34, v3, v63
	v_lshl_add_u32 v76, v52, 3, 0
	ds_read_b64 v[62:63], v89
	ds_read_b64 v[64:65], v84
	ds_read_b64 v[66:67], v83
	ds_read_b64 v[68:69], v80
	ds_read_b64 v[2:3], v78
	ds_read_b64 v[0:1], v76
	v_add3_u32 v102, 0, v35, v36
	v_fmamk_f32 v35, v71, 0x3f5db3d7, v41
	v_fmamk_f32 v36, v95, 0xbf5db3d7, v42
	v_add_f32_e32 v96, v116, v117
	v_mul_u32_u24_sdwa v10, v10, v70 dst_sel:DWORD dst_unused:UNUSED_PAD src0_sel:WORD_0 src1_sel:DWORD
	v_lshlrev_b32_sdwa v21, v94, v21 dst_sel:DWORD dst_unused:UNUSED_PAD src0_sel:DWORD src1_sel:BYTE_0
	s_waitcnt lgkmcnt(0)
	s_barrier
	buffer_gl0_inv
	ds_write2_b64 v102, v[33:34], v[35:36] offset1:10
	v_add_f32_e32 v35, v114, v115
	v_add_f32_e32 v33, v60, v116
	v_fma_f32 v60, -0.5, v96, v60
	v_sub_f32_e32 v70, v114, v115
	v_add3_u32 v10, 0, v10, v21
	v_add_f32_e32 v21, v120, v121
	v_fmac_f32_e32 v41, 0xbf5db3d7, v71
	v_add_f32_e32 v34, v61, v114
	v_fmac_f32_e32 v61, -0.5, v35
	v_sub_f32_e32 v71, v116, v117
	v_fmac_f32_e32 v42, 0x3f5db3d7, v95
	v_fmamk_f32 v35, v70, 0x3f5db3d7, v60
	v_fmac_f32_e32 v60, 0xbf5db3d7, v70
	v_add_f32_e32 v70, v62, v120
	v_fma_f32 v62, -0.5, v21, v62
	v_add_f32_e32 v21, v118, v119
	v_lshlrev_b32_sdwa v23, v94, v23 dst_sel:DWORD dst_unused:UNUSED_PAD src0_sel:DWORD src1_sel:WORD_0
	v_add_f32_e32 v33, v33, v117
	v_add_f32_e32 v34, v34, v115
	v_fmamk_f32 v36, v71, 0xbf5db3d7, v61
	v_fmac_f32_e32 v61, 0x3f5db3d7, v71
	v_add_f32_e32 v71, v63, v118
	v_fmac_f32_e32 v63, -0.5, v21
	v_sub_f32_e32 v21, v120, v121
	v_add3_u32 v14, 0, v14, v23
	ds_write_b64 v102, v[41:42] offset:160
	ds_write2_b64 v10, v[33:34], v[35:36] offset1:10
	ds_write_b64 v10, v[60:61] offset:160
	v_add_f32_e32 v10, v124, v110
	v_add_f32_e32 v23, v39, v124
	v_fmamk_f32 v96, v21, 0xbf5db3d7, v63
	v_fmac_f32_e32 v63, 0x3f5db3d7, v21
	v_add_f32_e32 v33, v122, v123
	v_fma_f32 v39, -0.5, v10, v39
	v_add_f32_e32 v10, v40, v122
	v_add_f32_e32 v21, v23, v110
	v_lshlrev_b32_sdwa v23, v94, v22 dst_sel:DWORD dst_unused:UNUSED_PAD src0_sel:DWORD src1_sel:WORD_0
	v_sub_f32_e32 v105, v118, v119
	v_sub_f32_e32 v35, v122, v123
	v_add_f32_e32 v22, v10, v123
	v_fmac_f32_e32 v40, -0.5, v33
	v_add3_u32 v10, 0, v12, v23
	v_add_f32_e32 v12, v125, v112
	v_sub_f32_e32 v36, v124, v110
	v_add_f32_e32 v23, v37, v125
	v_add_f32_e32 v70, v70, v121
	;; [unrolled: 1-line block ×3, first 2 shown]
	v_fma_f32 v37, -0.5, v12, v37
	v_add_f32_e32 v12, v111, v126
	v_fmamk_f32 v95, v105, 0x3f5db3d7, v62
	v_fmac_f32_e32 v62, 0xbf5db3d7, v105
	v_fmamk_f32 v33, v35, 0x3f5db3d7, v39
	v_fmamk_f32 v34, v36, 0xbf5db3d7, v40
	v_fmac_f32_e32 v39, 0xbf5db3d7, v35
	v_fmac_f32_e32 v40, 0x3f5db3d7, v36
	v_add_f32_e32 v35, v38, v111
	v_sub_f32_e32 v41, v111, v126
	v_mul_u32_u24_e32 v36, 0xf0, v13
	v_lshlrev_b32_sdwa v20, v94, v20 dst_sel:DWORD dst_unused:UNUSED_PAD src0_sel:DWORD src1_sel:WORD_0
	v_fmac_f32_e32 v38, -0.5, v12
	v_sub_f32_e32 v42, v125, v112
	ds_write2_b64 v14, v[70:71], v[95:96] offset1:10
	v_add_f32_e32 v12, v23, v112
	v_add_f32_e32 v13, v35, v126
	v_add3_u32 v20, 0, v36, v20
	v_fmamk_f32 v35, v41, 0x3f5db3d7, v37
	v_fmamk_f32 v36, v42, 0xbf5db3d7, v38
	ds_write_b64 v14, v[62:63] offset:160
	ds_write2_b64 v10, v[21:22], v[33:34] offset1:10
	ds_write_b64 v10, v[39:40] offset:160
	v_add_f32_e32 v10, v128, v98
	v_sub_f32_e32 v14, v127, v113
	v_mul_u32_u24_e32 v21, 0xf0, v9
	ds_write2_b64 v20, v[12:13], v[35:36] offset1:10
	v_add_f32_e32 v12, v64, v128
	v_fma_f32 v64, -0.5, v10, v64
	v_add_f32_e32 v10, v127, v113
	v_add_f32_e32 v13, v65, v127
	v_lshlrev_b32_sdwa v18, v94, v18 dst_sel:DWORD dst_unused:UNUSED_PAD src0_sel:DWORD src1_sel:WORD_0
	v_sub_f32_e32 v22, v128, v98
	v_fmac_f32_e32 v37, 0xbf5db3d7, v41
	v_fmac_f32_e32 v65, -0.5, v10
	v_fmac_f32_e32 v38, 0x3f5db3d7, v42
	v_add_f32_e32 v9, v12, v98
	v_add_f32_e32 v10, v13, v113
	v_add3_u32 v18, 0, v21, v18
	v_fmamk_f32 v12, v14, 0x3f5db3d7, v64
	v_fmamk_f32 v13, v22, 0xbf5db3d7, v65
	v_fmac_f32_e32 v64, 0xbf5db3d7, v14
	v_add_f32_e32 v14, v31, v32
	ds_write_b64 v20, v[37:38] offset:160
	ds_write2_b64 v18, v[9:10], v[12:13] offset1:10
	v_lshlrev_b32_sdwa v13, v94, v16 dst_sel:DWORD dst_unused:UNUSED_PAD src0_sel:DWORD src1_sel:WORD_0
	v_fmac_f32_e32 v65, 0x3f5db3d7, v22
	v_add_f32_e32 v9, v66, v31
	v_fma_f32 v66, -0.5, v14, v66
	v_add_f32_e32 v12, v30, v29
	v_sub_f32_e32 v14, v30, v29
	v_add3_u32 v21, 0, v11, v13
	v_add_f32_e32 v13, v27, v28
	ds_write_b64 v18, v[64:65] offset:160
	v_add_f32_e32 v10, v67, v30
	v_fmac_f32_e32 v67, -0.5, v12
	v_sub_f32_e32 v16, v31, v32
	v_fmamk_f32 v11, v14, 0x3f5db3d7, v66
	v_fmac_f32_e32 v66, 0xbf5db3d7, v14
	v_add_f32_e32 v14, v68, v27
	v_fma_f32 v68, -0.5, v13, v68
	v_add_f32_e32 v18, v25, v26
	v_lshlrev_b32_sdwa v15, v94, v15 dst_sel:DWORD dst_unused:UNUSED_PAD src0_sel:DWORD src1_sel:WORD_0
	v_sub_f32_e32 v20, v25, v26
	v_fmamk_f32 v12, v16, 0xbf5db3d7, v67
	v_fmac_f32_e32 v67, 0x3f5db3d7, v16
	v_add_f32_e32 v16, v69, v25
	v_fmac_f32_e32 v69, -0.5, v18
	v_sub_f32_e32 v18, v27, v28
	v_add3_u32 v8, 0, v8, v15
	v_fmamk_f32 v15, v20, 0x3f5db3d7, v68
	v_add_f32_e32 v22, v99, v43
	v_fmac_f32_e32 v68, 0xbf5db3d7, v20
	v_add_f32_e32 v20, v24, v100
	v_add_f32_e32 v13, v14, v28
	v_add_f32_e32 v14, v16, v26
	v_fmamk_f32 v16, v18, 0xbf5db3d7, v69
	v_fmac_f32_e32 v69, 0x3f5db3d7, v18
	v_add_f32_e32 v18, v2, v99
	v_fma_f32 v2, -0.5, v22, v2
	v_add_f32_e32 v22, v3, v24
	v_sub_f32_e32 v23, v24, v100
	v_mul_u32_u24_e32 v24, 0xf0, v17
	v_lshlrev_b32_sdwa v19, v94, v19 dst_sel:DWORD dst_unused:UNUSED_PAD src0_sel:DWORD src1_sel:WORD_0
	v_fmac_f32_e32 v3, -0.5, v20
	v_sub_f32_e32 v25, v99, v43
	v_add_f32_e32 v9, v9, v32
	v_add_f32_e32 v10, v10, v29
	;; [unrolled: 1-line block ×4, first 2 shown]
	v_add3_u32 v22, 0, v24, v19
	v_fmamk_f32 v19, v23, 0x3f5db3d7, v2
	v_fmamk_f32 v20, v25, 0xbf5db3d7, v3
	ds_write2_b64 v21, v[9:10], v[11:12] offset1:10
	ds_write_b64 v21, v[66:67] offset:160
	ds_write2_b64 v8, v[13:14], v[15:16] offset1:10
	ds_write_b64 v8, v[68:69] offset:160
	ds_write2_b64 v22, v[17:18], v[19:20] offset1:10
	v_mov_b32_e32 v13, 0x8889
	v_add_f32_e32 v8, v103, v104
	v_add_f32_e32 v9, v101, v97
	;; [unrolled: 1-line block ×3, first 2 shown]
	v_lshrrev_b16 v102, 12, v4
	v_mul_u32_u24_sdwa v13, v59, v13 dst_sel:DWORD dst_unused:UNUSED_PAD src0_sel:WORD_0 src1_sel:DWORD
	v_add_f32_e32 v10, v0, v103
	v_fma_f32 v0, -0.5, v8, v0
	v_fmac_f32_e32 v1, -0.5, v9
	v_sub_f32_e32 v4, v101, v97
	v_sub_f32_e32 v12, v103, v104
	v_add_f32_e32 v9, v11, v97
	v_mul_lo_u16 v11, v102, 30
	v_lshlrev_b32_sdwa v7, v94, v7 dst_sel:DWORD dst_unused:UNUSED_PAD src0_sel:DWORD src1_sel:WORD_0
	v_fmac_f32_e32 v2, 0xbf5db3d7, v23
	v_fmac_f32_e32 v3, 0x3f5db3d7, v25
	v_lshrrev_b32_e32 v96, 20, v13
	v_add_f32_e32 v8, v10, v104
	v_fmamk_f32 v10, v4, 0x3f5db3d7, v0
	v_sub_nc_u16 v103, v48, v11
	v_fmac_f32_e32 v0, 0xbf5db3d7, v4
	v_fmamk_f32 v11, v12, 0xbf5db3d7, v1
	v_add3_u32 v4, 0, v6, v7
	v_mov_b32_e32 v14, 9
	ds_write_b64 v22, v[2:3] offset:160
	ds_write2_b64 v4, v[8:9], v[10:11] offset1:10
	v_mul_lo_u16 v2, v96, 30
	v_mul_u32_u24_sdwa v6, v103, v14 dst_sel:DWORD dst_unused:UNUSED_PAD src0_sel:BYTE_0 src1_sel:DWORD
	v_fmac_f32_e32 v1, 0x3f5db3d7, v12
	v_mul_lo_u16 v3, 0x89, v5
	v_add_nc_u32_e32 v95, 0x1400, v72
	v_sub_nc_u16 v97, v59, v2
	v_lshlrev_b32_e32 v40, 3, v6
	ds_write_b64 v4, v[0:1] offset:160
	v_lshrrev_b16 v108, 12, v3
	s_waitcnt lgkmcnt(0)
	v_mul_u32_u24_sdwa v0, v97, v14 dst_sel:DWORD dst_unused:UNUSED_PAD src0_sel:WORD_0 src1_sel:DWORD
	s_barrier
	buffer_gl0_inv
	global_load_dwordx4 v[110:113], v40, s[12:13] offset:160
	v_mul_lo_u16 v1, v108, 30
	v_lshlrev_b32_e32 v41, 3, v0
	v_sub_nc_u16 v109, v44, v1
	global_load_dwordx4 v[114:117], v41, s[12:13] offset:160
	v_mul_u32_u24_sdwa v0, v109, v14 dst_sel:DWORD dst_unused:UNUSED_PAD src0_sel:BYTE_0 src1_sel:DWORD
	v_lshlrev_b32_e32 v42, 3, v0
	s_clause 0xc
	global_load_dwordx4 v[0:3], v42, s[12:13] offset:160
	global_load_dwordx4 v[4:7], v42, s[12:13] offset:176
	global_load_dwordx4 v[8:11], v40, s[12:13] offset:176
	global_load_dwordx4 v[12:15], v41, s[12:13] offset:176
	global_load_dwordx4 v[16:19], v42, s[12:13] offset:192
	global_load_dwordx4 v[20:23], v40, s[12:13] offset:192
	global_load_dwordx4 v[24:27], v41, s[12:13] offset:192
	global_load_dwordx4 v[28:31], v42, s[12:13] offset:208
	global_load_dwordx4 v[32:35], v40, s[12:13] offset:208
	global_load_dwordx4 v[36:39], v41, s[12:13] offset:208
	global_load_dwordx2 v[62:63], v42, s[12:13] offset:224
	global_load_dwordx2 v[64:65], v40, s[12:13] offset:224
	;; [unrolled: 1-line block ×3, first 2 shown]
	ds_read2_b64 v[118:121], v93 offset0:144 offset1:244
	ds_read2_b64 v[122:125], v95 offset0:60 offset1:160
	ds_read_b64 v[68:69], v86
	ds_read_b64 v[66:67], v83
	ds_read2_b32 v[70:71], v76 offset1:1
	s_waitcnt vmcnt(14) lgkmcnt(4)
	v_mul_f32_e32 v40, v119, v111
	s_waitcnt lgkmcnt(3)
	v_mul_f32_e32 v41, v123, v113
	v_mul_f32_e32 v104, v118, v111
	;; [unrolled: 1-line block ×3, first 2 shown]
	v_fma_f32 v105, v118, v110, -v40
	v_fma_f32 v107, v122, v112, -v41
	s_waitcnt vmcnt(13)
	v_mul_f32_e32 v99, v121, v115
	v_mul_f32_e32 v98, v120, v115
	ds_read2_b64 v[40:43], v85 offset0:48 offset1:148
	v_fmac_f32_e32 v104, v119, v110
	v_mul_f32_e32 v101, v125, v117
	v_mul_f32_e32 v100, v124, v117
	v_fmac_f32_e32 v106, v123, v112
	v_fma_f32 v99, v120, v114, -v99
	v_fmac_f32_e32 v98, v121, v114
	s_waitcnt vmcnt(12) lgkmcnt(3)
	v_mul_f32_e32 v114, v1, v69
	ds_read2_b64 v[110:113], v92 offset0:104 offset1:204
	v_fma_f32 v101, v124, v116, -v101
	v_fmac_f32_e32 v100, v125, v116
	v_mul_f32_e32 v120, v1, v68
	s_waitcnt lgkmcnt(3)
	v_mul_f32_e32 v1, v3, v67
	v_fma_f32 v122, v0, v68, -v114
	ds_read2_b64 v[114:117], v81 offset0:120 offset1:220
	v_mul_f32_e32 v121, v3, v66
	v_fmac_f32_e32 v120, v0, v69
	v_fma_f32 v0, v2, v66, -v1
	s_waitcnt vmcnt(11) lgkmcnt(3)
	v_mul_f32_e32 v1, v71, v5
	v_mul_f32_e32 v123, v5, v70
	v_fmac_f32_e32 v121, v2, v67
	s_waitcnt lgkmcnt(2)
	v_mul_f32_e32 v2, v41, v7
	v_mul_f32_e32 v124, v40, v7
	v_fma_f32 v70, v4, v70, -v1
	v_fmac_f32_e32 v123, v71, v4
	s_waitcnt vmcnt(10)
	v_mul_f32_e32 v1, v43, v11
	v_mul_f32_e32 v71, v42, v11
	ds_read2_b64 v[66:69], v79 offset0:8 offset1:108
	v_fma_f32 v125, v40, v6, -v2
	v_fmac_f32_e32 v124, v41, v6
	v_fma_f32 v126, v42, v10, -v1
	v_fmac_f32_e32 v71, v43, v10
	s_waitcnt lgkmcnt(2)
	v_mul_f32_e32 v1, v111, v9
	v_mul_f32_e32 v127, v110, v9
	s_waitcnt vmcnt(9)
	v_mul_f32_e32 v3, v113, v13
	ds_read2_b64 v[40:43], v90 offset0:64 offset1:164
	v_mul_f32_e32 v2, v112, v13
	v_fma_f32 v128, v110, v8, -v1
	s_waitcnt lgkmcnt(2)
	v_mul_f32_e32 v1, v115, v15
	v_fmac_f32_e32 v127, v111, v8
	v_fma_f32 v3, v112, v12, -v3
	v_fmac_f32_e32 v2, v113, v12
	ds_read2_b64 v[110:113], v77 offset0:80 offset1:180
	v_mul_f32_e32 v5, v114, v15
	v_fma_f32 v7, v114, v14, -v1
	s_waitcnt vmcnt(8)
	v_mul_f32_e32 v1, v117, v17
	v_mul_f32_e32 v114, v116, v17
	s_waitcnt lgkmcnt(2)
	v_mul_f32_e32 v4, v67, v19
	v_fmac_f32_e32 v5, v115, v14
	ds_read2_b64 v[12:15], v49 offset0:96 offset1:196
	v_fma_f32 v115, v116, v16, -v1
	v_mul_f32_e32 v116, v66, v19
	v_fmac_f32_e32 v114, v117, v16
	v_fma_f32 v1, v66, v18, -v4
	s_waitcnt vmcnt(7)
	v_mul_f32_e32 v4, v69, v23
	v_mul_f32_e32 v66, v68, v23
	s_waitcnt lgkmcnt(2)
	v_mul_f32_e32 v6, v41, v21
	v_fmac_f32_e32 v116, v67, v18
	v_mul_f32_e32 v67, v40, v21
	ds_read2_b64 v[16:19], v88 offset0:152 offset1:252
	v_fma_f32 v68, v68, v22, -v4
	v_fmac_f32_e32 v66, v69, v22
	v_fma_f32 v40, v40, v20, -v6
	s_waitcnt vmcnt(6)
	v_mul_f32_e32 v6, v43, v25
	v_fmac_f32_e32 v67, v41, v20
	v_mul_f32_e32 v4, v42, v25
	s_waitcnt lgkmcnt(2)
	v_mul_f32_e32 v8, v111, v27
	v_mul_f32_e32 v9, v110, v27
	ds_read2_b64 v[20:23], v82 offset0:40 offset1:140
	v_fma_f32 v6, v42, v24, -v6
	v_fmac_f32_e32 v4, v43, v24
	s_waitcnt vmcnt(5)
	v_mul_f32_e32 v10, v113, v29
	v_fma_f32 v11, v110, v26, -v8
	v_fmac_f32_e32 v9, v111, v26
	ds_read2_b64 v[24:27], v87 offset0:112 offset1:212
	v_mul_f32_e32 v29, v112, v29
	v_fma_f32 v41, v112, v28, -v10
	s_waitcnt lgkmcnt(3)
	v_mul_f32_e32 v8, v13, v31
	v_mul_f32_e32 v31, v12, v31
	s_waitcnt vmcnt(4)
	v_mul_f32_e32 v10, v15, v35
	ds_read_b64 v[118:119], v72
	v_fmac_f32_e32 v29, v113, v28
	v_fma_f32 v28, v12, v30, -v8
	v_mul_f32_e32 v35, v14, v35
	v_fmac_f32_e32 v31, v13, v30
	v_fma_f32 v30, v14, v34, -v10
	s_waitcnt lgkmcnt(3)
	v_mul_f32_e32 v10, v17, v33
	v_mul_f32_e32 v33, v16, v33
	s_waitcnt vmcnt(3)
	v_mul_f32_e32 v12, v19, v37
	v_fmac_f32_e32 v35, v15, v34
	v_mul_f32_e32 v8, v18, v37
	v_fma_f32 v34, v16, v32, -v10
	v_fmac_f32_e32 v33, v17, v32
	s_waitcnt lgkmcnt(2)
	v_mul_f32_e32 v14, v21, v39
	v_fma_f32 v10, v18, v36, -v12
	s_waitcnt vmcnt(2)
	v_mul_f32_e32 v12, v23, v63
	v_mul_f32_e32 v32, v22, v63
	v_fmac_f32_e32 v8, v19, v36
	v_fma_f32 v15, v20, v38, -v14
	s_waitcnt vmcnt(1) lgkmcnt(1)
	v_mul_f32_e32 v14, v25, v65
	v_fma_f32 v22, v22, v62, -v12
	v_mul_f32_e32 v36, v24, v65
	v_fmac_f32_e32 v32, v23, v62
	v_add_f32_e32 v16, v114, v29
	v_add_f32_e32 v19, v115, v41
	v_mul_f32_e32 v13, v20, v39
	v_fma_f32 v37, v24, v64, -v14
	s_waitcnt vmcnt(0)
	v_mul_f32_e32 v14, v27, v61
	v_fmac_f32_e32 v36, v25, v64
	v_sub_f32_e32 v20, v70, v115
	v_fma_f32 v24, -0.5, v16, v120
	v_sub_f32_e32 v16, v123, v114
	v_fma_f32 v25, -0.5, v19, v122
	v_sub_f32_e32 v19, v32, v29
	v_sub_f32_e32 v42, v22, v41
	v_mul_f32_e32 v12, v26, v61
	v_fma_f32 v14, v26, v60, -v14
	v_sub_f32_e32 v17, v0, v125
	v_add_f32_e32 v62, v16, v19
	v_add_f32_e32 v26, v20, v42
	v_sub_f32_e32 v16, v121, v124
	v_sub_f32_e32 v19, v31, v116
	s_waitcnt lgkmcnt(0)
	v_add_f32_e32 v20, v118, v0
	v_sub_f32_e32 v18, v28, v1
	v_fmac_f32_e32 v12, v27, v60
	v_mov_b32_e32 v60, 0x960
	v_add_f32_e32 v63, v16, v19
	v_add_f32_e32 v16, v20, v125
	;; [unrolled: 1-line block ×3, first 2 shown]
	v_lshlrev_b32_sdwa v18, v94, v109 dst_sel:DWORD dst_unused:UNUSED_PAD src0_sel:DWORD src1_sel:BYTE_0
	v_mul_u32_u24_sdwa v17, v108, v60 dst_sel:DWORD dst_unused:UNUSED_PAD src0_sel:WORD_0 src1_sel:DWORD
	v_add_f32_e32 v19, v125, v1
	v_add_f32_e32 v16, v16, v1
	;; [unrolled: 1-line block ×3, first 2 shown]
	v_sub_f32_e32 v112, v124, v116
	v_add3_u32 v64, 0, v17, v18
	v_fma_f32 v69, -0.5, v19, v118
	v_add_f32_e32 v65, v16, v28
	v_add_f32_e32 v16, v124, v116
	;; [unrolled: 1-line block ×5, first 2 shown]
	v_sub_f32_e32 v108, v121, v31
	v_fma_f32 v109, -0.5, v16, v119
	v_add_f32_e32 v16, v18, v115
	v_add_f32_e32 v18, v19, v114
	v_sub_f32_e32 v110, v0, v28
	v_sub_f32_e32 v117, v125, v1
	v_add_f32_e32 v17, v17, v116
	v_sub_f32_e32 v1, v1, v28
	v_add_f32_e32 v18, v18, v29
	v_sub_f32_e32 v23, v70, v22
	v_sub_f32_e32 v39, v115, v41
	v_add_f32_e32 v129, v17, v31
	v_add_f32_e32 v16, v16, v41
	;; [unrolled: 1-line block ×4, first 2 shown]
	v_sub_f32_e32 v0, v125, v0
	v_add_f32_e32 v125, v121, v31
	v_sub_f32_e32 v121, v124, v121
	v_sub_f32_e32 v31, v116, v31
	v_fma_f32 v118, -0.5, v18, v118
	v_add_f32_e32 v28, v0, v1
	v_fmac_f32_e32 v13, v21, v38
	v_sub_f32_e32 v38, v123, v32
	v_fmamk_f32 v21, v23, 0xbf737871, v24
	v_fmamk_f32 v132, v112, 0xbf737871, v118
	v_fmac_f32_e32 v118, 0x3f737871, v112
	v_sub_f32_e32 v61, v114, v29
	v_add_f32_e32 v130, v16, v22
	v_fmamk_f32 v43, v38, 0x3f737871, v25
	v_fmac_f32_e32 v132, 0x3f167918, v108
	v_fmac_f32_e32 v118, 0xbf167918, v108
	;; [unrolled: 1-line block ×3, first 2 shown]
	v_sub_f32_e32 v29, v29, v32
	v_fmac_f32_e32 v25, 0xbf737871, v38
	v_fmac_f32_e32 v132, 0x3e9e377a, v28
	;; [unrolled: 1-line block ×3, first 2 shown]
	v_add_f32_e32 v28, v121, v31
	v_sub_f32_e32 v31, v115, v70
	v_add_f32_e32 v70, v70, v22
	v_add_f32_e32 v115, v123, v32
	v_sub_f32_e32 v22, v41, v22
	v_sub_f32_e32 v41, v114, v123
	v_fmac_f32_e32 v24, 0x3f737871, v23
	v_fmac_f32_e32 v122, -0.5, v70
	v_fmac_f32_e32 v120, -0.5, v115
	v_add_f32_e32 v22, v31, v22
	v_fmac_f32_e32 v43, 0x3f167918, v61
	v_fmac_f32_e32 v21, 0x3e9e377a, v62
	v_fmamk_f32 v70, v61, 0xbf737871, v122
	v_fmamk_f32 v31, v39, 0x3f737871, v120
	v_fmac_f32_e32 v122, 0x3f737871, v61
	v_fmac_f32_e32 v120, 0xbf737871, v39
	v_fmac_f32_e32 v119, -0.5, v125
	v_fmac_f32_e32 v70, 0x3f167918, v38
	v_add_f32_e32 v29, v41, v29
	v_fmac_f32_e32 v31, 0xbf167918, v23
	v_fmac_f32_e32 v122, 0xbf167918, v38
	;; [unrolled: 1-line block ×3, first 2 shown]
	v_fmamk_f32 v111, v108, 0x3f737871, v69
	v_fmac_f32_e32 v69, 0xbf737871, v108
	v_fmac_f32_e32 v25, 0xbf167918, v61
	;; [unrolled: 1-line block ×4, first 2 shown]
	v_mul_f32_e32 v42, 0x3f167918, v21
	v_fmamk_f32 v113, v110, 0xbf737871, v109
	v_fmamk_f32 v116, v117, 0x3f737871, v119
	v_fmac_f32_e32 v119, 0xbf737871, v117
	v_fmac_f32_e32 v70, 0x3e9e377a, v22
	;; [unrolled: 1-line block ×11, first 2 shown]
	v_mul_f32_e32 v43, 0xbf167918, v43
	v_fmac_f32_e32 v113, 0xbf167918, v117
	v_fmac_f32_e32 v116, 0xbf167918, v110
	;; [unrolled: 1-line block ×3, first 2 shown]
	v_mul_f32_e32 v32, 0x3f737871, v31
	v_mul_f32_e32 v38, 0xbf737871, v70
	;; [unrolled: 1-line block ×4, first 2 shown]
	v_fmac_f32_e32 v111, 0x3e9e377a, v27
	v_fmac_f32_e32 v109, 0x3f167918, v117
	;; [unrolled: 1-line block ×3, first 2 shown]
	v_mul_f32_e32 v26, 0x3f4f1bbd, v25
	v_mul_f32_e32 v27, 0x3f4f1bbd, v24
	v_fmac_f32_e32 v43, 0x3f4f1bbd, v21
	v_fmac_f32_e32 v113, 0x3e9e377a, v63
	;; [unrolled: 1-line block ×6, first 2 shown]
	v_fma_f32 v31, 0x3f737871, v120, -v22
	v_fma_f32 v39, 0xbf737871, v122, -v23
	v_fmac_f32_e32 v109, 0x3e9e377a, v63
	v_fma_f32 v41, 0x3f167918, v24, -v26
	v_fma_f32 v61, 0xbf167918, v25, -v27
	v_add_f32_e32 v16, v65, v130
	v_add_f32_e32 v17, v129, v131
	;; [unrolled: 1-line block ×8, first 2 shown]
	v_sub_f32_e32 v26, v65, v130
	v_sub_f32_e32 v27, v129, v131
	v_add_f32_e32 v28, v69, v41
	v_add_f32_e32 v29, v109, v61
	ds_read_b64 v[20:21], v91
	ds_read_b64 v[0:1], v89
	s_waitcnt lgkmcnt(0)
	s_barrier
	buffer_gl0_inv
	ds_write2_b64 v64, v[16:17], v[18:19] offset1:30
	ds_write2_b64 v64, v[22:23], v[24:25] offset0:60 offset1:90
	ds_write2_b64 v64, v[28:29], v[26:27] offset0:120 offset1:150
	v_add_f32_e32 v28, v40, v34
	v_sub_f32_e32 v23, v119, v39
	v_add_f32_e32 v26, v67, v33
	v_sub_f32_e32 v18, v132, v32
	v_sub_f32_e32 v19, v116, v38
	v_fma_f32 v39, -0.5, v28, v105
	v_sub_f32_e32 v28, v127, v36
	v_sub_f32_e32 v22, v118, v31
	;; [unrolled: 1-line block ×5, first 2 shown]
	v_fma_f32 v38, -0.5, v26, v104
	v_sub_f32_e32 v32, v128, v37
	v_fmamk_f32 v61, v28, 0x3f737871, v39
	v_sub_f32_e32 v62, v67, v33
	v_sub_f32_e32 v16, v111, v42
	;; [unrolled: 1-line block ×6, first 2 shown]
	v_fmamk_f32 v42, v32, 0xbf737871, v38
	v_sub_f32_e32 v43, v40, v34
	v_add_f32_e32 v31, v29, v31
	v_fmac_f32_e32 v61, 0x3f167918, v62
	v_sub_f32_e32 v27, v107, v126
	v_sub_f32_e32 v63, v30, v68
	v_add_f32_e32 v41, v26, v41
	v_fmac_f32_e32 v42, 0xbf167918, v43
	v_sub_f32_e32 v26, v106, v71
	v_sub_f32_e32 v29, v35, v66
	v_add_f32_e32 v65, v20, v107
	v_fmac_f32_e32 v61, 0x3e9e377a, v31
	v_fmac_f32_e32 v42, 0x3e9e377a, v41
	v_add_f32_e32 v63, v27, v63
	v_add_f32_e32 v69, v26, v29
	;; [unrolled: 1-line block ×3, first 2 shown]
	v_mul_f32_e32 v65, 0xbf167918, v61
	v_mul_u32_u24_sdwa v27, v102, v60 dst_sel:DWORD dst_unused:UNUSED_PAD src0_sel:WORD_0 src1_sel:DWORD
	v_lshlrev_b32_sdwa v29, v94, v103 dst_sel:DWORD dst_unused:UNUSED_PAD src0_sel:DWORD src1_sel:BYTE_0
	v_add_f32_e32 v60, v21, v106
	v_mul_f32_e32 v70, 0x3f167918, v42
	v_add_f32_e32 v26, v26, v68
	v_fmac_f32_e32 v65, 0x3f4f1bbd, v42
	v_add3_u32 v42, 0, v27, v29
	v_add_f32_e32 v27, v60, v71
	v_add_f32_e32 v29, v107, v30
	;; [unrolled: 1-line block ×3, first 2 shown]
	v_sub_f32_e32 v103, v107, v30
	v_sub_f32_e32 v107, v126, v107
	v_add_f32_e32 v27, v27, v66
	v_sub_f32_e32 v30, v68, v30
	v_fmac_f32_e32 v70, 0x3f4f1bbd, v61
	v_add_f32_e32 v26, v126, v68
	v_sub_f32_e32 v61, v106, v35
	v_sub_f32_e32 v102, v71, v66
	v_fma_f32 v108, -0.5, v29, v20
	v_add_f32_e32 v29, v71, v66
	v_add_f32_e32 v109, v27, v35
	v_add_f32_e32 v27, v107, v30
	v_sub_f32_e32 v30, v71, v106
	v_add_f32_e32 v71, v106, v35
	v_add_f32_e32 v106, v105, v128
	v_sub_f32_e32 v35, v66, v35
	v_fmamk_f32 v107, v102, 0xbf737871, v108
	v_fmac_f32_e32 v108, 0x3f737871, v102
	v_fma_f32 v66, -0.5, v26, v20
	v_add_f32_e32 v20, v106, v40
	v_add_f32_e32 v26, v104, v127
	v_fma_f32 v106, -0.5, v29, v21
	v_add_f32_e32 v29, v30, v35
	v_add_f32_e32 v35, v127, v36
	v_fmac_f32_e32 v107, 0x3f167918, v61
	v_fmac_f32_e32 v108, 0xbf167918, v61
	v_add_f32_e32 v20, v20, v34
	v_add_f32_e32 v26, v26, v67
	;; [unrolled: 1-line block ×3, first 2 shown]
	v_fmac_f32_e32 v104, -0.5, v35
	v_fmac_f32_e32 v107, 0x3e9e377a, v27
	v_fmac_f32_e32 v108, 0x3e9e377a, v27
	v_add_f32_e32 v20, v20, v37
	v_sub_f32_e32 v27, v40, v128
	v_sub_f32_e32 v34, v34, v37
	v_add_f32_e32 v26, v26, v33
	v_sub_f32_e32 v37, v67, v127
	v_sub_f32_e32 v33, v33, v36
	v_fmac_f32_e32 v105, -0.5, v30
	v_fmamk_f32 v30, v43, 0x3f737871, v104
	v_add_f32_e32 v27, v27, v34
	v_fmac_f32_e32 v104, 0xbf737871, v43
	v_add_f32_e32 v33, v37, v33
	v_fmamk_f32 v34, v62, 0xbf737871, v105
	v_fmac_f32_e32 v105, 0x3f737871, v62
	v_fmac_f32_e32 v30, 0xbf167918, v32
	;; [unrolled: 1-line block ×8, first 2 shown]
	v_sub_f32_e32 v68, v126, v68
	v_fmac_f32_e32 v21, -0.5, v71
	v_fmac_f32_e32 v34, 0x3e9e377a, v27
	v_fmac_f32_e32 v105, 0x3e9e377a, v27
	v_mul_f32_e32 v111, 0x3f737871, v30
	v_fmac_f32_e32 v104, 0x3e9e377a, v33
	v_fmac_f32_e32 v39, 0xbf167918, v62
	;; [unrolled: 1-line block ×3, first 2 shown]
	v_fmamk_f32 v71, v61, 0x3f737871, v66
	v_fmamk_f32 v110, v103, 0xbf737871, v106
	;; [unrolled: 1-line block ×3, first 2 shown]
	v_fmac_f32_e32 v21, 0xbf737871, v68
	v_fmac_f32_e32 v111, 0x3e9e377a, v34
	v_mul_f32_e32 v112, 0xbf737871, v34
	v_mul_f32_e32 v33, 0x3e9e377a, v105
	;; [unrolled: 1-line block ×3, first 2 shown]
	v_fmac_f32_e32 v66, 0xbf737871, v61
	v_fmac_f32_e32 v106, 0x3f737871, v103
	;; [unrolled: 1-line block ×8, first 2 shown]
	v_fma_f32 v104, 0x3f737871, v104, -v33
	v_fma_f32 v105, 0xbf737871, v105, -v34
	v_fmac_f32_e32 v66, 0xbf167918, v102
	v_fmac_f32_e32 v106, 0x3f167918, v68
	v_mul_f32_e32 v33, 0x3f4f1bbd, v39
	v_mul_f32_e32 v34, 0x3f4f1bbd, v38
	v_add_f32_e32 v35, v26, v36
	v_fmac_f32_e32 v71, 0x3e9e377a, v63
	v_fmac_f32_e32 v110, 0x3e9e377a, v69
	;; [unrolled: 1-line block ×7, first 2 shown]
	v_fma_f32 v38, 0x3f167918, v38, -v33
	v_fma_f32 v39, 0xbf167918, v39, -v34
	v_add_nc_u32_e32 v40, 0x400, v64
	v_add_f32_e32 v26, v60, v20
	v_add_f32_e32 v27, v109, v35
	;; [unrolled: 1-line block ×8, first 2 shown]
	v_sub_f32_e32 v34, v60, v20
	v_sub_f32_e32 v35, v109, v35
	v_add_f32_e32 v36, v66, v38
	v_add_f32_e32 v37, v106, v39
	ds_write2_b64 v64, v[16:17], v[18:19] offset0:180 offset1:210
	ds_write2_b64 v40, v[22:23], v[24:25] offset0:112 offset1:142
	ds_write2_b64 v42, v[26:27], v[28:29] offset1:30
	ds_write2_b64 v42, v[30:31], v[32:33] offset0:60 offset1:90
	ds_write2_b64 v42, v[36:37], v[34:35] offset0:120 offset1:150
	v_add_f32_e32 v24, v4, v8
	v_add_f32_e32 v25, v6, v10
	v_sub_f32_e32 v29, v3, v14
	v_sub_f32_e32 v31, v2, v12
	;; [unrolled: 1-line block ×3, first 2 shown]
	v_fma_f32 v28, -0.5, v24, v98
	v_sub_f32_e32 v24, v2, v4
	v_fma_f32 v30, -0.5, v25, v99
	v_sub_f32_e32 v25, v12, v8
	v_sub_f32_e32 v26, v3, v6
	v_fmamk_f32 v27, v29, 0xbf737871, v28
	v_sub_f32_e32 v33, v14, v10
	v_fmamk_f32 v34, v31, 0x3f737871, v30
	v_sub_f32_e32 v35, v4, v8
	v_add_f32_e32 v36, v24, v25
	v_fmac_f32_e32 v27, 0xbf167918, v32
	v_add_f32_e32 v33, v26, v33
	v_sub_f32_e32 v23, v106, v39
	v_fmac_f32_e32 v34, 0x3f167918, v35
	v_sub_f32_e32 v24, v101, v7
	v_fmac_f32_e32 v27, 0x3e9e377a, v36
	v_sub_f32_e32 v25, v15, v11
	v_sub_f32_e32 v26, v100, v5
	v_fmac_f32_e32 v34, 0x3e9e377a, v33
	v_sub_f32_e32 v37, v13, v9
	v_mul_f32_e32 v39, 0x3f167918, v27
	v_add_f32_e32 v41, v24, v25
	v_lshlrev_b32_sdwa v25, v94, v97 dst_sel:DWORD dst_unused:UNUSED_PAD src0_sel:DWORD src1_sel:WORD_0
	v_sub_f32_e32 v22, v66, v38
	v_add_f32_e32 v37, v26, v37
	v_fmac_f32_e32 v39, 0x3f4f1bbd, v34
	v_mul_f32_e32 v34, 0xbf167918, v34
	v_mul_u32_u24_e32 v26, 0x960, v96
	v_add_f32_e32 v38, v0, v101
	v_sub_f32_e32 v16, v71, v70
	v_sub_f32_e32 v17, v110, v65
	v_fmac_f32_e32 v34, 0x3f4f1bbd, v27
	v_add_f32_e32 v27, v1, v100
	v_add3_u32 v43, 0, v26, v25
	v_add_f32_e32 v24, v38, v7
	v_add_f32_e32 v38, v7, v11
	v_sub_f32_e32 v65, v5, v9
	v_add_f32_e32 v25, v27, v5
	v_sub_f32_e32 v19, v67, v112
	v_add_f32_e32 v24, v24, v11
	v_fma_f32 v38, -0.5, v38, v0
	v_sub_f32_e32 v61, v100, v13
	v_add_f32_e32 v25, v25, v9
	v_sub_f32_e32 v67, v7, v11
	v_add_f32_e32 v60, v24, v15
	v_add_f32_e32 v24, v5, v9
	;; [unrolled: 1-line block ×6, first 2 shown]
	v_fma_f32 v62, -0.5, v24, v1
	v_add_f32_e32 v24, v26, v6
	v_fmac_f32_e32 v30, 0xbf737871, v31
	v_fma_f32 v71, -0.5, v25, v0
	v_sub_f32_e32 v0, v7, v101
	v_sub_f32_e32 v7, v11, v15
	v_add_f32_e32 v26, v27, v4
	v_fmac_f32_e32 v28, 0x3f737871, v29
	v_fmamk_f32 v11, v65, 0xbf737871, v71
	v_fmac_f32_e32 v71, 0x3f737871, v65
	v_add_f32_e32 v0, v0, v7
	v_add_f32_e32 v7, v100, v13
	v_sub_f32_e32 v63, v101, v15
	v_fmac_f32_e32 v11, 0x3f167918, v61
	v_fmac_f32_e32 v71, 0xbf167918, v61
	v_add_f32_e32 v24, v24, v10
	v_fmac_f32_e32 v1, -0.5, v7
	v_add_f32_e32 v7, v3, v14
	v_fmac_f32_e32 v11, 0x3e9e377a, v0
	v_fmac_f32_e32 v71, 0x3e9e377a, v0
	v_add_f32_e32 v0, v2, v12
	v_sub_f32_e32 v3, v6, v3
	v_fmac_f32_e32 v99, -0.5, v7
	v_sub_f32_e32 v6, v10, v14
	v_sub_f32_e32 v5, v5, v100
	v_fmac_f32_e32 v98, -0.5, v0
	v_sub_f32_e32 v0, v4, v2
	v_sub_f32_e32 v2, v8, v12
	v_fmamk_f32 v7, v35, 0xbf737871, v99
	v_fmac_f32_e32 v99, 0x3f737871, v35
	v_fmamk_f32 v4, v32, 0x3f737871, v98
	v_fmac_f32_e32 v98, 0xbf737871, v32
	v_add_f32_e32 v0, v0, v2
	v_add_f32_e32 v2, v3, v6
	v_fmac_f32_e32 v7, 0x3f167918, v31
	v_fmac_f32_e32 v4, 0xbf167918, v29
	;; [unrolled: 1-line block ×4, first 2 shown]
	v_sub_f32_e32 v9, v9, v13
	v_fmamk_f32 v10, v67, 0x3f737871, v1
	v_fmac_f32_e32 v1, 0xbf737871, v67
	v_fmac_f32_e32 v30, 0xbf167918, v35
	;; [unrolled: 1-line block ×3, first 2 shown]
	v_fmamk_f32 v64, v61, 0x3f737871, v38
	v_fmamk_f32 v66, v63, 0xbf737871, v62
	v_add_f32_e32 v26, v26, v8
	v_fmac_f32_e32 v4, 0x3e9e377a, v0
	v_fmac_f32_e32 v7, 0x3e9e377a, v2
	;; [unrolled: 1-line block ×4, first 2 shown]
	v_add_f32_e32 v5, v5, v9
	v_fmac_f32_e32 v10, 0xbf167918, v63
	v_fmac_f32_e32 v1, 0x3f167918, v63
	v_fmac_f32_e32 v38, 0xbf737871, v61
	v_fmac_f32_e32 v62, 0x3f737871, v63
	v_fmac_f32_e32 v30, 0x3e9e377a, v33
	v_fmac_f32_e32 v28, 0x3e9e377a, v36
	v_fmac_f32_e32 v64, 0x3f167918, v65
	v_fmac_f32_e32 v66, 0xbf167918, v67
	v_add_f32_e32 v70, v26, v12
	v_mul_f32_e32 v12, 0x3f737871, v4
	v_mul_f32_e32 v13, 0xbf737871, v7
	;; [unrolled: 1-line block ×4, first 2 shown]
	v_fmac_f32_e32 v10, 0x3e9e377a, v5
	v_fmac_f32_e32 v1, 0x3e9e377a, v5
	;; [unrolled: 1-line block ×4, first 2 shown]
	v_mul_f32_e32 v5, 0x3f4f1bbd, v30
	v_mul_f32_e32 v6, 0x3f4f1bbd, v28
	v_add_f32_e32 v69, v24, v14
	v_fmac_f32_e32 v64, 0x3e9e377a, v41
	v_fmac_f32_e32 v66, 0x3e9e377a, v37
	;; [unrolled: 1-line block ×4, first 2 shown]
	v_fma_f32 v14, 0x3f737871, v98, -v0
	v_fma_f32 v0, 0xbf737871, v99, -v2
	v_fmac_f32_e32 v38, 0x3e9e377a, v41
	v_fmac_f32_e32 v62, 0x3e9e377a, v37
	v_fma_f32 v15, 0x3f167918, v28, -v5
	v_fma_f32 v28, 0xbf167918, v30, -v6
	v_sub_f32_e32 v18, v107, v111
	v_sub_f32_e32 v21, v21, v105
	;; [unrolled: 1-line block ×3, first 2 shown]
	v_add_nc_u32_e32 v40, 0x400, v42
	v_add_f32_e32 v24, v60, v69
	v_add_f32_e32 v25, v68, v70
	;; [unrolled: 1-line block ×8, first 2 shown]
	v_sub_f32_e32 v6, v60, v69
	v_sub_f32_e32 v7, v68, v70
	v_add_f32_e32 v8, v38, v15
	v_add_f32_e32 v9, v62, v28
	ds_write2_b64 v42, v[16:17], v[18:19] offset0:180 offset1:210
	ds_write2_b64 v40, v[20:21], v[22:23] offset0:112 offset1:142
	ds_write2_b64 v43, v[24:25], v[26:27] offset1:30
	ds_write2_b64 v43, v[2:3], v[4:5] offset0:60 offset1:90
	ds_write2_b64 v43, v[8:9], v[6:7] offset0:120 offset1:150
	v_sub_f32_e32 v3, v1, v0
	v_mov_b32_e32 v1, 0
	v_mul_i32_i24_e32 v0, 9, v48
	v_sub_f32_e32 v4, v64, v39
	v_sub_f32_e32 v5, v66, v34
	;; [unrolled: 1-line block ×4, first 2 shown]
	v_lshlrev_b64 v[8:9], 3, v[0:1]
	v_mul_i32_i24_e32 v0, 9, v59
	v_sub_f32_e32 v2, v71, v14
	v_sub_f32_e32 v10, v38, v15
	ds_write2_b64 v43, v[4:5], v[6:7] offset0:180 offset1:210
	v_sub_f32_e32 v11, v62, v28
	v_add_co_u32 v22, s0, s12, v8
	v_add_co_ci_u32_e64 v23, s0, s13, v9, s0
	v_lshlrev_b64 v[6:7], 3, v[0:1]
	v_add_co_u32 v18, s0, 0x800, v22
	v_add_co_ci_u32_e64 v19, s0, 0, v23, s0
	v_mul_u32_u24_e32 v0, 9, v44
	v_add_co_u32 v32, s0, s12, v6
	v_add_nc_u32_e32 v4, 0x400, v43
	v_add_co_ci_u32_e64 v33, s0, s13, v7, s0
	v_lshlrev_b32_e32 v0, 3, v0
	v_add_co_u32 v20, s0, 0x800, v32
	ds_write2_b64 v4, v[2:3], v[10:11] offset0:112 offset1:142
	s_waitcnt lgkmcnt(0)
	s_barrier
	buffer_gl0_inv
	global_load_dwordx4 v[2:5], v[18:19], off offset:272
	v_add_co_ci_u32_e64 v21, s0, 0, v33, s0
	v_add_co_u32 v0, s0, s12, v0
	v_add_co_ci_u32_e64 v14, null, s13, 0, s0
	global_load_dwordx4 v[6:9], v[20:21], off offset:272
	v_add_co_u32 v26, s0, 0x800, v0
	v_add_co_ci_u32_e64 v27, s0, 0, v14, s0
	v_add_co_u32 v28, s0, 0x910, v0
	v_add_co_ci_u32_e64 v29, s0, 0, v14, s0
	global_load_dwordx4 v[10:13], v[26:27], off offset:272
	v_add_co_u32 v30, s0, 0x910, v22
	global_load_dwordx4 v[14:17], v[28:29], off offset:16
	v_add_co_ci_u32_e64 v31, s0, 0, v23, s0
	v_add_co_u32 v32, s0, 0x910, v32
	v_add_co_ci_u32_e64 v33, s0, 0, v33, s0
	s_clause 0xa
	global_load_dwordx4 v[22:25], v[30:31], off offset:16
	global_load_dwordx4 v[38:41], v[32:33], off offset:16
	;; [unrolled: 1-line block ×8, first 2 shown]
	global_load_dwordx2 v[116:117], v[26:27], off offset:336
	global_load_dwordx2 v[18:19], v[18:19], off offset:336
	;; [unrolled: 1-line block ×3, first 2 shown]
	ds_read2_b64 v[28:31], v93 offset0:144 offset1:244
	ds_read2_b64 v[33:36], v95 offset0:60 offset1:160
	ds_read_b64 v[42:43], v86
	ds_read_b64 v[64:65], v83
	;; [unrolled: 1-line block ×4, first 2 shown]
	ds_read2_b64 v[112:115], v85 offset0:48 offset1:148
	s_waitcnt vmcnt(14) lgkmcnt(6)
	v_mul_f32_e32 v0, v29, v3
	v_mul_f32_e32 v20, v28, v3
	s_waitcnt lgkmcnt(5)
	v_mul_f32_e32 v3, v34, v5
	v_mul_f32_e32 v27, v33, v5
	v_fma_f32 v21, v28, v2, -v0
	v_fmac_f32_e32 v20, v29, v2
	v_fma_f32 v26, v33, v4, -v3
	s_waitcnt vmcnt(13)
	v_mul_f32_e32 v2, v31, v7
	v_mul_f32_e32 v3, v36, v9
	;; [unrolled: 1-line block ×3, first 2 shown]
	v_fmac_f32_e32 v27, v34, v4
	v_mul_f32_e32 v0, v35, v9
	v_fma_f32 v34, v30, v6, -v2
	v_fma_f32 v32, v35, v8, -v3
	ds_read2_b64 v[2:5], v92 offset0:104 offset1:204
	v_fmac_f32_e32 v33, v31, v6
	s_waitcnt vmcnt(12) lgkmcnt(5)
	v_mul_f32_e32 v6, v11, v43
	v_fmac_f32_e32 v0, v36, v8
	v_mul_f32_e32 v85, v11, v42
	s_waitcnt lgkmcnt(4)
	v_mul_f32_e32 v11, v13, v65
	v_mul_f32_e32 v92, v13, v64
	v_fma_f32 v95, v10, v42, -v6
	s_waitcnt vmcnt(11) lgkmcnt(3)
	v_mul_f32_e32 v13, v15, v94
	ds_read2_b64 v[6:9], v81 offset0:120 offset1:220
	v_fmac_f32_e32 v85, v10, v43
	v_fma_f32 v81, v12, v64, -v11
	v_fmac_f32_e32 v92, v12, v65
	v_mul_f32_e32 v122, v15, v93
	v_fma_f32 v93, v14, v93, -v13
	s_waitcnt lgkmcnt(2)
	v_mul_f32_e32 v15, v113, v17
	v_mul_f32_e32 v123, v112, v17
	s_waitcnt vmcnt(10)
	v_mul_f32_e32 v17, v115, v25
	v_mul_f32_e32 v28, v114, v25
	ds_read2_b64 v[10:13], v79 offset0:8 offset1:108
	v_fmac_f32_e32 v122, v14, v94
	v_fma_f32 v94, v112, v16, -v15
	v_fmac_f32_e32 v123, v113, v16
	v_fma_f32 v30, v114, v24, -v17
	v_fmac_f32_e32 v28, v115, v24
	s_waitcnt lgkmcnt(2)
	v_mul_f32_e32 v24, v3, v23
	v_mul_f32_e32 v29, v2, v23
	s_waitcnt vmcnt(9)
	v_mul_f32_e32 v23, v5, v39
	v_mul_f32_e32 v36, v4, v39
	ds_read2_b64 v[14:17], v90 offset0:64 offset1:164
	v_fma_f32 v31, v2, v22, -v24
	v_fmac_f32_e32 v29, v3, v22
	v_fma_f32 v37, v4, v38, -v23
	v_fmac_f32_e32 v36, v5, v38
	ds_read2_b64 v[2:5], v77 offset0:80 offset1:180
	s_waitcnt lgkmcnt(3)
	v_mul_f32_e32 v25, v7, v41
	v_mul_f32_e32 v35, v6, v41
	s_waitcnt vmcnt(8)
	v_mul_f32_e32 v90, v8, v61
	s_waitcnt lgkmcnt(2)
	v_mul_f32_e32 v22, v11, v63
	v_fma_f32 v39, v6, v40, -v25
	v_mul_f32_e32 v6, v9, v61
	v_mul_f32_e32 v112, v10, v63
	v_fmac_f32_e32 v35, v7, v40
	v_fmac_f32_e32 v90, v9, v60
	v_fma_f32 v114, v10, v62, -v22
	v_fma_f32 v113, v8, v60, -v6
	v_fmac_f32_e32 v112, v11, v62
	s_waitcnt vmcnt(7)
	v_mul_f32_e32 v10, v13, v70
	v_mul_f32_e32 v64, v12, v70
	ds_read2_b64 v[6:9], v49 offset0:96 offset1:196
	s_waitcnt lgkmcnt(2)
	v_mul_f32_e32 v11, v15, v68
	v_mul_f32_e32 v65, v14, v68
	s_waitcnt vmcnt(6)
	v_mul_f32_e32 v22, v17, v97
	v_fma_f32 v68, v12, v69, -v10
	v_fmac_f32_e32 v64, v13, v69
	v_fma_f32 v66, v14, v67, -v11
	v_fmac_f32_e32 v65, v15, v67
	v_mul_f32_e32 v40, v16, v97
	ds_read2_b64 v[10:13], v88 offset0:152 offset1:252
	s_waitcnt lgkmcnt(2)
	v_mul_f32_e32 v14, v3, v99
	s_waitcnt vmcnt(5)
	v_mul_f32_e32 v15, v5, v101
	v_fma_f32 v41, v16, v96, -v22
	ds_read2_b64 v[22:25], v82 offset0:40 offset1:140
	v_fmac_f32_e32 v40, v17, v96
	v_fma_f32 v42, v2, v98, -v14
	v_fma_f32 v82, v4, v100, -v15
	ds_read2_b64 v[14:17], v87 offset0:112 offset1:212
	v_mul_f32_e32 v38, v2, v99
	v_mul_f32_e32 v88, v4, v101
	s_waitcnt lgkmcnt(3)
	v_mul_f32_e32 v2, v7, v103
	v_mul_f32_e32 v96, v6, v103
	s_waitcnt vmcnt(4)
	v_mul_f32_e32 v67, v8, v107
	v_fmac_f32_e32 v38, v3, v98
	v_mul_f32_e32 v3, v9, v107
	v_fma_f32 v87, v6, v102, -v2
	v_fmac_f32_e32 v96, v7, v102
	v_fmac_f32_e32 v88, v5, v100
	;; [unrolled: 1-line block ×3, first 2 shown]
	v_fma_f32 v71, v8, v106, -v3
	s_waitcnt lgkmcnt(2)
	v_mul_f32_e32 v2, v11, v105
	s_waitcnt vmcnt(3)
	v_mul_f32_e32 v3, v13, v109
	v_mul_f32_e32 v69, v10, v105
	s_waitcnt lgkmcnt(1)
	v_mul_f32_e32 v4, v23, v111
	s_waitcnt vmcnt(2)
	v_mul_f32_e32 v7, v24, v117
	v_fma_f32 v70, v10, v104, -v2
	v_fma_f32 v60, v12, v108, -v3
	v_mul_f32_e32 v2, v25, v117
	s_waitcnt vmcnt(1) lgkmcnt(0)
	v_mul_f32_e32 v3, v15, v19
	v_fma_f32 v61, v22, v110, -v4
	v_add_f32_e32 v4, v123, v112
	v_mul_f32_e32 v43, v22, v111
	v_fma_f32 v8, v24, v116, -v2
	v_fma_f32 v79, v14, v18, -v3
	v_sub_f32_e32 v2, v94, v81
	v_sub_f32_e32 v3, v114, v87
	v_mul_f32_e32 v77, v14, v19
	v_fmac_f32_e32 v7, v25, v116
	v_fma_f32 v22, -0.5, v4, v121
	v_add_f32_e32 v4, v93, v8
	v_add_f32_e32 v14, v2, v3
	;; [unrolled: 1-line block ×3, first 2 shown]
	v_mul_f32_e32 v49, v12, v109
	v_fmac_f32_e32 v77, v15, v18
	v_add_f32_e32 v9, v90, v88
	v_add_f32_e32 v10, v122, v7
	v_fma_f32 v15, -0.5, v2, v95
	v_add_f32_e32 v2, v95, v93
	v_fmac_f32_e32 v95, -0.5, v4
	v_sub_f32_e32 v19, v90, v88
	v_fmac_f32_e32 v69, v11, v104
	v_fmac_f32_e32 v49, v13, v108
	;; [unrolled: 1-line block ×3, first 2 shown]
	v_sub_f32_e32 v4, v113, v93
	v_sub_f32_e32 v11, v82, v8
	v_fma_f32 v18, -0.5, v9, v85
	v_add_f32_e32 v9, v85, v122
	v_fmac_f32_e32 v85, -0.5, v10
	v_sub_f32_e32 v10, v90, v122
	v_sub_f32_e32 v23, v113, v82
	;; [unrolled: 1-line block ×3, first 2 shown]
	v_fmamk_f32 v24, v19, 0xbf737871, v95
	v_fmac_f32_e32 v95, 0x3f737871, v19
	v_sub_f32_e32 v25, v122, v7
	v_add_f32_e32 v13, v81, v87
	v_add_f32_e32 v6, v92, v96
	v_fmamk_f32 v97, v23, 0x3f737871, v85
	v_fmac_f32_e32 v85, 0xbf737871, v23
	v_sub_f32_e32 v98, v93, v8
	v_add_f32_e32 v99, v4, v11
	v_add_f32_e32 v11, v10, v12
	v_fmac_f32_e32 v95, 0xbf167918, v25
	v_fma_f32 v10, -0.5, v13, v120
	v_sub_f32_e32 v100, v123, v112
	v_add_f32_e32 v3, v121, v92
	v_fmac_f32_e32 v121, -0.5, v6
	v_sub_f32_e32 v6, v123, v92
	v_fmac_f32_e32 v85, 0x3f167918, v98
	v_sub_f32_e32 v4, v112, v96
	v_fmac_f32_e32 v95, 0x3e9e377a, v99
	v_fmamk_f32 v102, v100, 0xbf737871, v10
	v_fmac_f32_e32 v10, 0x3f737871, v100
	v_sub_f32_e32 v103, v92, v96
	s_waitcnt vmcnt(0)
	v_mul_f32_e32 v5, v17, v119
	v_fmac_f32_e32 v85, 0x3e9e377a, v11
	v_add_f32_e32 v106, v6, v4
	v_mul_f32_e32 v4, 0x3e9e377a, v95
	v_fmac_f32_e32 v10, 0xbf167918, v103
	v_mul_f32_e32 v62, v16, v119
	v_add_f32_e32 v13, v120, v81
	v_fma_f32 v63, v16, v118, -v5
	v_fma_f32 v12, 0x3f737871, v85, -v4
	v_fmac_f32_e32 v10, 0x3e9e377a, v14
	v_add_f32_e32 v16, v2, v113
	v_add_f32_e32 v9, v9, v90
	;; [unrolled: 1-line block ×5, first 2 shown]
	v_sub_f32_e32 v2, v10, v12
	v_add_f32_e32 v12, v16, v82
	v_add_f32_e32 v9, v9, v88
	v_fmac_f32_e32 v62, v17, v118
	v_add_f32_e32 v10, v13, v114
	v_add_f32_e32 v13, v94, v114
	;; [unrolled: 1-line block ×5, first 2 shown]
	v_sub_f32_e32 v17, v93, v113
	v_sub_f32_e32 v8, v8, v82
	;; [unrolled: 1-line block ×3, first 2 shown]
	v_fmamk_f32 v88, v25, 0x3f737871, v15
	v_sub_f32_e32 v105, v81, v87
	v_mul_f32_e32 v6, 0x3e9e377a, v85
	v_fma_f32 v85, -0.5, v13, v120
	v_add_f32_e32 v13, v16, v96
	v_sub_f32_e32 v16, v81, v94
	v_sub_f32_e32 v81, v122, v90
	v_fmamk_f32 v82, v98, 0xbf737871, v18
	v_add_f32_e32 v17, v17, v8
	v_fmac_f32_e32 v88, 0x3f167918, v19
	v_fmac_f32_e32 v18, 0x3f737871, v98
	v_add_f32_e32 v81, v81, v7
	v_fmac_f32_e32 v82, 0xbf167918, v23
	v_sub_f32_e32 v101, v94, v114
	v_fmac_f32_e32 v88, 0x3e9e377a, v17
	v_add_f32_e32 v10, v10, v87
	v_sub_f32_e32 v87, v87, v114
	v_fmac_f32_e32 v82, 0x3e9e377a, v81
	v_fmac_f32_e32 v97, 0xbf167918, v98
	v_mul_f32_e32 v94, 0xbf167918, v88
	v_fmac_f32_e32 v24, 0x3f167918, v25
	v_fmac_f32_e32 v18, 0x3f167918, v23
	v_fmamk_f32 v104, v101, 0x3f737871, v121
	v_sub_f32_e32 v7, v92, v123
	v_sub_f32_e32 v8, v96, v112
	v_add_f32_e32 v87, v16, v87
	v_fmamk_f32 v16, v103, 0x3f737871, v85
	v_fmamk_f32 v90, v105, 0xbf737871, v22
	v_mul_f32_e32 v93, 0x3f167918, v82
	v_fmac_f32_e32 v94, 0x3f4f1bbd, v82
	v_fmac_f32_e32 v97, 0x3e9e377a, v11
	;; [unrolled: 1-line block ×6, first 2 shown]
	ds_read_b64 v[81:82], v91
	v_fmac_f32_e32 v121, 0xbf737871, v101
	v_add_f32_e32 v92, v7, v8
	v_fmac_f32_e32 v16, 0x3f167918, v100
	v_fmac_f32_e32 v90, 0xbf167918, v101
	;; [unrolled: 1-line block ×4, first 2 shown]
	v_mul_f32_e32 v88, 0x3f737871, v97
	v_fmac_f32_e32 v15, 0xbf167918, v19
	v_mul_f32_e32 v19, 0xbf737871, v24
	v_fmac_f32_e32 v22, 0x3f737871, v105
	v_fmac_f32_e32 v85, 0xbf167918, v100
	;; [unrolled: 1-line block ×11, first 2 shown]
	v_mul_f32_e32 v17, 0x3f4f1bbd, v18
	v_fmac_f32_e32 v85, 0x3e9e377a, v87
	v_sub_f32_e32 v24, v30, v26
	v_sub_f32_e32 v87, v68, v71
	v_fma_f32 v6, 0xbf737871, v95, -v6
	v_fmac_f32_e32 v121, 0x3e9e377a, v106
	v_add_f32_e32 v7, v13, v9
	v_sub_f32_e32 v9, v13, v9
	v_add_f32_e32 v13, v90, v94
	v_sub_f32_e32 v11, v90, v94
	v_fmac_f32_e32 v102, 0x3e9e377a, v14
	v_mul_f32_e32 v14, 0x3f4f1bbd, v15
	v_fmac_f32_e32 v22, 0x3e9e377a, v92
	v_fma_f32 v25, 0xbf167918, v15, -v17
	v_add_f32_e32 v17, v104, v19
	v_sub_f32_e32 v15, v104, v19
	v_add_f32_e32 v19, v28, v64
	v_add_f32_e32 v90, v27, v67
	;; [unrolled: 1-line block ×5, first 2 shown]
	v_sub_f32_e32 v3, v121, v6
	v_add_f32_e32 v6, v10, v12
	v_sub_f32_e32 v8, v10, v12
	v_add_f32_e32 v12, v16, v93
	;; [unrolled: 2-line block ×3, first 2 shown]
	v_fma_f32 v23, 0x3f167918, v18, -v14
	v_sub_f32_e32 v14, v102, v88
	ds_read_b64 v[87:88], v89
	s_waitcnt lgkmcnt(1)
	v_fma_f32 v93, -0.5, v19, v82
	v_add_f32_e32 v94, v82, v27
	v_fmac_f32_e32 v82, -0.5, v90
	v_fma_f32 v90, -0.5, v24, v21
	v_add_f32_e32 v24, v31, v79
	v_add_f32_e32 v96, v65, v69
	;; [unrolled: 1-line block ×4, first 2 shown]
	v_sub_f32_e32 v100, v65, v69
	v_fmac_f32_e32 v21, -0.5, v24
	v_fma_f32 v96, -0.5, v96, v20
	v_add_f32_e32 v101, v20, v29
	v_fmac_f32_e32 v20, -0.5, v99
	v_sub_f32_e32 v99, v66, v70
	v_sub_f32_e32 v95, v66, v31
	;; [unrolled: 1-line block ×4, first 2 shown]
	v_fmamk_f32 v102, v100, 0xbf737871, v21
	v_fmac_f32_e32 v21, 0x3f737871, v100
	v_sub_f32_e32 v103, v29, v77
	v_sub_f32_e32 v104, v69, v77
	v_fmamk_f32 v105, v99, 0x3f737871, v20
	v_fmac_f32_e32 v20, 0xbf737871, v99
	v_sub_f32_e32 v106, v31, v79
	v_add_f32_e32 v95, v95, v97
	v_fmac_f32_e32 v21, 0xbf167918, v103
	v_add_f32_e32 v97, v24, v104
	v_sub_f32_e32 v108, v30, v68
	v_fmac_f32_e32 v20, 0x3f167918, v106
	v_sub_f32_e32 v19, v28, v27
	v_sub_f32_e32 v24, v64, v67
	v_fmac_f32_e32 v21, 0x3e9e377a, v95
	v_fmamk_f32 v111, v108, 0x3f737871, v82
	v_fmac_f32_e32 v20, 0x3e9e377a, v97
	v_fmac_f32_e32 v82, 0xbf737871, v108
	v_sub_f32_e32 v112, v26, v71
	v_add_f32_e32 v113, v19, v24
	v_mul_f32_e32 v24, 0x3e9e377a, v21
	v_mul_f32_e32 v114, 0x3e9e377a, v20
	v_add_f32_e32 v18, v85, v23
	v_fmac_f32_e32 v82, 0x3f167918, v112
	v_add_f32_e32 v107, v26, v71
	v_fma_f32 v20, 0x3f737871, v20, -v24
	v_fma_f32 v21, 0xbf737871, v21, -v114
	v_sub_f32_e32 v24, v85, v23
	v_fmac_f32_e32 v82, 0x3e9e377a, v113
	v_add_f32_e32 v85, v81, v26
	v_add_f32_e32 v94, v94, v28
	;; [unrolled: 1-line block ×5, first 2 shown]
	v_sub_f32_e32 v21, v82, v21
	v_add_f32_e32 v82, v85, v30
	v_add_f32_e32 v85, v30, v68
	v_fma_f32 v104, -0.5, v107, v81
	v_sub_f32_e32 v29, v29, v65
	v_sub_f32_e32 v65, v77, v69
	v_add_f32_e32 v82, v82, v68
	v_fma_f32 v81, -0.5, v85, v81
	v_add_f32_e32 v85, v94, v64
	v_add_f32_e32 v94, v98, v70
	v_add_f32_e32 v98, v101, v69
	v_fmamk_f32 v69, v106, 0xbf737871, v96
	v_sub_f32_e32 v107, v28, v64
	v_sub_f32_e32 v110, v27, v67
	v_add_f32_e32 v82, v82, v71
	v_sub_f32_e32 v30, v26, v30
	v_sub_f32_e32 v68, v71, v68
	v_add_f32_e32 v71, v85, v67
	v_add_f32_e32 v85, v94, v79
	;; [unrolled: 1-line block ×3, first 2 shown]
	v_sub_f32_e32 v31, v31, v66
	v_sub_f32_e32 v66, v79, v70
	v_fmamk_f32 v70, v103, 0x3f737871, v90
	v_add_f32_e32 v77, v29, v65
	v_fmac_f32_e32 v69, 0xbf167918, v99
	v_fmac_f32_e32 v90, 0xbf737871, v103
	v_fmamk_f32 v109, v107, 0xbf737871, v104
	v_fmac_f32_e32 v104, 0x3f737871, v107
	v_add_f32_e32 v66, v31, v66
	v_fmac_f32_e32 v70, 0x3f167918, v100
	v_sub_f32_e32 v27, v27, v28
	v_sub_f32_e32 v28, v67, v64
	v_add_f32_e32 v67, v30, v68
	v_fmac_f32_e32 v69, 0x3e9e377a, v77
	v_fmamk_f32 v30, v110, 0x3f737871, v81
	v_fmac_f32_e32 v96, 0x3f737871, v106
	v_fmac_f32_e32 v90, 0xbf167918, v100
	;; [unrolled: 1-line block ×3, first 2 shown]
	v_add_f32_e32 v26, v82, v85
	v_fmac_f32_e32 v70, 0x3e9e377a, v66
	v_fmamk_f32 v31, v112, 0xbf737871, v93
	v_add_f32_e32 v68, v27, v28
	v_mul_f32_e32 v79, 0x3f167918, v69
	v_fmac_f32_e32 v30, 0x3f167918, v107
	v_sub_f32_e32 v28, v82, v85
	v_fmac_f32_e32 v109, 0x3f167918, v110
	v_fmac_f32_e32 v96, 0x3f167918, v99
	;; [unrolled: 1-line block ×3, first 2 shown]
	v_sub_f32_e32 v82, v39, v32
	v_sub_f32_e32 v85, v42, v61
	v_fmac_f32_e32 v104, 0x3e9e377a, v92
	v_mul_f32_e32 v98, 0xbf167918, v70
	v_fmac_f32_e32 v31, 0xbf167918, v108
	v_add_f32_e32 v27, v71, v94
	v_fmac_f32_e32 v79, 0x3f4f1bbd, v70
	v_fmac_f32_e32 v30, 0x3e9e377a, v67
	v_sub_f32_e32 v29, v71, v94
	v_fmac_f32_e32 v105, 0xbf167918, v106
	v_fmac_f32_e32 v102, 0x3f167918, v103
	;; [unrolled: 1-line block ×4, first 2 shown]
	v_mul_f32_e32 v71, 0x3f4f1bbd, v90
	v_add_f32_e32 v92, v41, v60
	v_add_f32_e32 v85, v82, v85
	;; [unrolled: 1-line block ×3, first 2 shown]
	v_fmac_f32_e32 v98, 0x3f4f1bbd, v69
	v_fmac_f32_e32 v31, 0x3e9e377a, v68
	v_add_f32_e32 v64, v30, v79
	v_sub_f32_e32 v30, v30, v79
	v_fmac_f32_e32 v105, 0x3e9e377a, v97
	v_fmac_f32_e32 v102, 0x3e9e377a, v95
	v_mul_f32_e32 v77, 0x3f4f1bbd, v96
	v_fma_f32 v79, 0x3f167918, v96, -v71
	v_fma_f32 v94, -0.5, v92, v34
	v_add_f32_e32 v96, v40, v49
	v_add_f32_e32 v97, v34, v37
	v_fmac_f32_e32 v34, -0.5, v82
	v_add_f32_e32 v82, v36, v62
	v_add_f32_e32 v65, v31, v98
	v_sub_f32_e32 v31, v31, v98
	v_mul_f32_e32 v69, 0x3f737871, v105
	v_mul_f32_e32 v70, 0xbf737871, v102
	v_sub_f32_e32 v92, v41, v37
	v_sub_f32_e32 v95, v60, v63
	v_fma_f32 v96, -0.5, v96, v33
	v_sub_f32_e32 v98, v40, v49
	v_add_f32_e32 v99, v33, v36
	v_fmac_f32_e32 v33, -0.5, v82
	v_sub_f32_e32 v100, v41, v60
	v_add_f32_e32 v19, v22, v25
	v_sub_f32_e32 v25, v22, v25
	v_add_f32_e32 v22, v104, v20
	v_sub_f32_e32 v20, v104, v20
	v_fmac_f32_e32 v69, 0x3e9e377a, v102
	v_fmac_f32_e32 v93, 0x3f737871, v112
	;; [unrolled: 1-line block ×3, first 2 shown]
	v_fma_f32 v77, 0xbf167918, v90, -v77
	v_add_f32_e32 v90, v35, v38
	v_add_f32_e32 v95, v92, v95
	v_sub_f32_e32 v82, v40, v36
	v_fmamk_f32 v101, v98, 0xbf737871, v34
	v_fmac_f32_e32 v34, 0x3f737871, v98
	v_sub_f32_e32 v102, v36, v62
	v_sub_f32_e32 v92, v49, v62
	v_fmamk_f32 v103, v100, 0x3f737871, v33
	v_fmac_f32_e32 v33, 0xbf737871, v100
	v_sub_f32_e32 v104, v37, v63
	v_add_f32_e32 v105, v0, v43
	v_fmac_f32_e32 v111, 0xbf167918, v112
	v_fmac_f32_e32 v81, 0xbf737871, v110
	v_fmac_f32_e32 v93, 0x3f167918, v108
	s_waitcnt lgkmcnt(0)
	v_fma_f32 v90, -0.5, v90, v88
	v_fmac_f32_e32 v34, 0xbf167918, v102
	v_add_f32_e32 v106, v88, v0
	v_add_f32_e32 v108, v82, v92
	v_fmac_f32_e32 v33, 0x3f167918, v104
	v_fmac_f32_e32 v88, -0.5, v105
	v_sub_f32_e32 v105, v39, v42
	v_fmac_f32_e32 v111, 0x3e9e377a, v113
	v_fmac_f32_e32 v81, 0xbf167918, v107
	v_add_f32_e32 v66, v109, v69
	v_fmac_f32_e32 v93, 0x3e9e377a, v68
	v_sub_f32_e32 v68, v109, v69
	v_fmac_f32_e32 v34, 0x3e9e377a, v95
	v_sub_f32_e32 v82, v35, v0
	v_sub_f32_e32 v109, v38, v43
	v_fmac_f32_e32 v33, 0x3e9e377a, v108
	v_fmamk_f32 v112, v105, 0x3f737871, v88
	v_fmac_f32_e32 v88, 0xbf737871, v105
	v_sub_f32_e32 v113, v32, v61
	v_fmac_f32_e32 v81, 0x3e9e377a, v67
	v_mul_f32_e32 v114, 0x3e9e377a, v34
	v_add_f32_e32 v109, v82, v109
	v_mul_f32_e32 v82, 0x3e9e377a, v33
	v_fmac_f32_e32 v88, 0x3f167918, v113
	v_add_f32_e32 v67, v111, v70
	v_sub_f32_e32 v69, v111, v70
	v_add_f32_e32 v70, v81, v79
	v_add_f32_e32 v71, v93, v77
	;; [unrolled: 1-line block ×3, first 2 shown]
	v_fma_f32 v114, 0x3f737871, v33, -v114
	v_sub_f32_e32 v33, v81, v79
	v_fma_f32 v79, 0xbf737871, v34, -v82
	v_fmac_f32_e32 v88, 0x3e9e377a, v109
	v_sub_f32_e32 v34, v93, v77
	v_add_f32_e32 v77, v87, v32
	v_add_f32_e32 v115, v39, v42
	v_fma_f32 v92, -0.5, v107, v87
	v_add_f32_e32 v82, v88, v79
	v_sub_f32_e32 v93, v88, v79
	v_add_f32_e32 v77, v77, v39
	v_fma_f32 v79, -0.5, v115, v87
	v_add_f32_e32 v87, v106, v35
	v_add_f32_e32 v88, v97, v41
	;; [unrolled: 1-line block ×4, first 2 shown]
	v_sub_f32_e32 v32, v32, v39
	v_add_f32_e32 v39, v87, v38
	v_add_f32_e32 v87, v88, v60
	;; [unrolled: 1-line block ×3, first 2 shown]
	v_sub_f32_e32 v37, v37, v41
	v_sub_f32_e32 v41, v63, v60
	;; [unrolled: 1-line block ×4, first 2 shown]
	v_fmamk_f32 v60, v104, 0xbf737871, v96
	v_sub_f32_e32 v111, v0, v43
	v_add_f32_e32 v77, v77, v61
	v_sub_f32_e32 v42, v61, v42
	v_add_f32_e32 v61, v87, v63
	v_add_f32_e32 v87, v88, v62
	v_fmamk_f32 v62, v102, 0x3f737871, v94
	v_add_f32_e32 v49, v40, v49
	v_fmac_f32_e32 v60, 0xbf167918, v100
	v_sub_f32_e32 v107, v35, v38
	v_add_f32_e32 v63, v37, v41
	v_fmac_f32_e32 v62, 0x3f167918, v98
	v_sub_f32_e32 v0, v0, v35
	v_sub_f32_e32 v35, v43, v38
	v_add_f32_e32 v32, v32, v42
	v_fmac_f32_e32 v60, 0x3e9e377a, v49
	v_fmamk_f32 v42, v111, 0x3f737871, v79
	v_fmac_f32_e32 v94, 0xbf737871, v102
	v_fmac_f32_e32 v96, 0x3f737871, v104
	;; [unrolled: 1-line block ×3, first 2 shown]
	v_add_f32_e32 v0, v0, v35
	v_mul_f32_e32 v35, 0x3f167918, v60
	v_fmac_f32_e32 v42, 0x3f167918, v107
	v_fmac_f32_e32 v103, 0xbf167918, v104
	;; [unrolled: 1-line block ×5, first 2 shown]
	v_fmamk_f32 v110, v107, 0xbf737871, v92
	v_fmac_f32_e32 v92, 0x3f737871, v107
	v_add_f32_e32 v39, v39, v43
	v_fmamk_f32 v43, v113, 0xbf737871, v90
	v_fmac_f32_e32 v35, 0x3f4f1bbd, v62
	v_fmac_f32_e32 v42, 0x3e9e377a, v32
	;; [unrolled: 1-line block ×9, first 2 shown]
	v_add_f32_e32 v36, v77, v61
	v_mul_f32_e32 v88, 0xbf167918, v62
	v_fmac_f32_e32 v43, 0xbf167918, v105
	v_sub_f32_e32 v38, v77, v61
	v_add_f32_e32 v40, v42, v35
	v_sub_f32_e32 v42, v42, v35
	v_fmac_f32_e32 v110, 0x3f167918, v111
	v_fmac_f32_e32 v112, 0xbf167918, v113
	v_mul_f32_e32 v35, 0x3f737871, v103
	v_mul_f32_e32 v77, 0xbf737871, v101
	v_fmac_f32_e32 v79, 0xbf167918, v107
	v_fmac_f32_e32 v90, 0x3f167918, v105
	v_mul_f32_e32 v49, 0x3f4f1bbd, v94
	v_mul_f32_e32 v61, 0x3f4f1bbd, v96
	v_fmac_f32_e32 v92, 0x3e9e377a, v85
	v_fmac_f32_e32 v88, 0x3f4f1bbd, v60
	;; [unrolled: 1-line block ×9, first 2 shown]
	v_fma_f32 v0, 0x3f167918, v96, -v49
	v_fma_f32 v32, 0xbf167918, v94, -v61
	v_add_f32_e32 v81, v92, v114
	v_sub_f32_e32 v92, v92, v114
	v_add_f32_e32 v37, v39, v87
	v_sub_f32_e32 v39, v39, v87
	;; [unrolled: 2-line block ×3, first 2 shown]
	v_add_f32_e32 v60, v110, v35
	v_add_f32_e32 v61, v112, v77
	v_sub_f32_e32 v62, v110, v35
	v_sub_f32_e32 v63, v112, v77
	v_add_f32_e32 v87, v79, v0
	v_add_f32_e32 v88, v90, v32
	v_sub_f32_e32 v94, v79, v0
	v_sub_f32_e32 v95, v90, v32
	s_barrier
	buffer_gl0_inv
	ds_write_b64 v72, v[6:7]
	ds_write_b64 v72, v[12:13] offset:2400
	ds_write_b64 v72, v[16:17] offset:4800
	ds_write_b64 v72, v[4:5] offset:7200
	ds_write_b64 v72, v[18:19] offset:9600
	ds_write_b64 v72, v[8:9] offset:12000
	ds_write_b64 v72, v[10:11] offset:14400
	ds_write_b64 v72, v[14:15] offset:16800
	ds_write_b64 v72, v[2:3] offset:19200
	ds_write_b64 v72, v[24:25] offset:21600
	ds_write_b64 v91, v[26:27]
	ds_write_b64 v91, v[64:65] offset:2400
	ds_write_b64 v91, v[66:67] offset:4800
	ds_write_b64 v91, v[22:23] offset:7200
	ds_write_b64 v91, v[70:71] offset:9600
	ds_write_b64 v91, v[28:29] offset:12000
	ds_write_b64 v91, v[30:31] offset:14400
	ds_write_b64 v91, v[68:69] offset:16800
	ds_write_b64 v91, v[20:21] offset:19200
	ds_write_b64 v91, v[33:34] offset:21600
	;; [unrolled: 10-line block ×3, first 2 shown]
	s_waitcnt lgkmcnt(0)
	s_barrier
	buffer_gl0_inv
	ds_read_b64 v[3:4], v72
	v_sub_nc_u32_e32 v0, 0, v45
                                        ; implicit-def: $vgpr2
                                        ; implicit-def: $vgpr6
	v_cmpx_ne_u32_e32 0, v44
	s_xor_b32 s5, exec_lo, s5
	s_cbranch_execz .LBB0_15
; %bb.14:
	v_mov_b32_e32 v45, v1
	v_lshlrev_b64 v[1:2], 3, v[44:45]
	v_add_co_u32 v1, s0, s1, v1
	v_add_co_ci_u32_e64 v2, s0, s4, v2, s0
	global_load_dwordx2 v[5:6], v[1:2], off
	ds_read_b64 v[1:2], v0 offset:24000
	s_waitcnt lgkmcnt(0)
	v_sub_f32_e32 v7, v3, v1
	v_add_f32_e32 v8, v2, v4
	v_sub_f32_e32 v2, v4, v2
	v_add_f32_e32 v1, v1, v3
	v_mul_f32_e32 v4, 0.5, v7
	v_mul_f32_e32 v3, 0.5, v8
	;; [unrolled: 1-line block ×3, first 2 shown]
	s_waitcnt vmcnt(0)
	v_mul_f32_e32 v7, v6, v4
	v_fma_f32 v8, v3, v6, v2
	v_fma_f32 v2, v3, v6, -v2
	v_fma_f32 v9, 0.5, v1, v7
	v_fma_f32 v1, v1, 0.5, -v7
	v_fma_f32 v6, -v5, v4, v8
	v_fma_f32 v2, -v5, v4, v2
	v_fmac_f32_e32 v9, v5, v3
	v_fma_f32 v1, -v5, v3, v1
                                        ; implicit-def: $vgpr3_vgpr4
	ds_write_b32 v72, v9
.LBB0_15:
	s_or_saveexec_b32 s0, s5
	v_mul_i32_i24_e32 v7, 0xffffffb8, v48
	v_mul_i32_i24_e32 v5, 0xffffffb8, v59
	s_xor_b32 exec_lo, exec_lo, s0
	s_cbranch_execz .LBB0_17
; %bb.16:
	v_mov_b32_e32 v6, 0
	s_waitcnt lgkmcnt(0)
	v_add_f32_e32 v8, v3, v4
	v_sub_f32_e32 v1, v3, v4
	ds_read_b32 v2, v6 offset:12004
	s_waitcnt lgkmcnt(0)
	v_xor_b32_e32 v3, 0x80000000, v2
	v_mov_b32_e32 v2, v6
	ds_write_b32 v72, v8
	ds_write_b32 v6, v3 offset:12004
.LBB0_17:
	s_or_b32 exec_lo, exec_lo, s0
	v_mov_b32_e32 v49, 0
	v_add_nc_u32_e32 v20, v73, v7
	s_waitcnt lgkmcnt(0)
	v_lshlrev_b64 v[3:4], 3, v[48:49]
	v_mov_b32_e32 v60, v49
	v_add_nc_u32_e32 v48, 0x3e8, v44
	v_lshlrev_b64 v[8:9], 3, v[59:60]
	v_add_co_u32 v3, s0, s1, v3
	v_add_co_ci_u32_e64 v4, s0, s4, v4, s0
	v_mov_b32_e32 v59, v49
	v_add_co_u32 v8, s0, s1, v8
	global_load_dwordx2 v[3:4], v[3:4], off
	v_add_co_ci_u32_e64 v9, s0, s4, v9, s0
	v_lshlrev_b64 v[10:11], 3, v[58:59]
	v_mov_b32_e32 v58, v49
	global_load_dwordx2 v[8:9], v[8:9], off
	v_add_co_u32 v10, s0, s1, v10
	v_add_co_ci_u32_e64 v11, s0, s4, v11, s0
	v_lshlrev_b64 v[12:13], 3, v[57:58]
	v_mov_b32_e32 v57, v49
	global_load_dwordx2 v[10:11], v[10:11], off
	v_add_co_u32 v12, s0, s1, v12
	;; [unrolled: 5-line block ×4, first 2 shown]
	v_add_co_ci_u32_e64 v17, s0, s4, v17, s0
	v_lshlrev_b64 v[18:19], 3, v[54:55]
	v_mov_b32_e32 v54, v49
	global_load_dwordx2 v[16:17], v[16:17], off
	ds_write_b32 v72, v6 offset:4
	ds_write_b64 v0, v[1:2] offset:24000
	ds_read_b64 v[1:2], v20
	ds_read_b64 v[6:7], v0 offset:23200
	v_add_co_u32 v18, s0, s1, v18
	v_add_co_ci_u32_e64 v19, s0, s4, v19, s0
	global_load_dwordx2 v[18:19], v[18:19], off
	s_waitcnt lgkmcnt(0)
	v_sub_f32_e32 v21, v1, v6
	v_add_f32_e32 v22, v2, v7
	v_sub_f32_e32 v2, v2, v7
	v_add_f32_e32 v6, v1, v6
	v_mul_f32_e32 v7, 0.5, v21
	v_mul_f32_e32 v21, 0.5, v22
	;; [unrolled: 1-line block ×3, first 2 shown]
	s_waitcnt vmcnt(6)
	v_mul_f32_e32 v22, v4, v7
	v_fma_f32 v23, v21, v4, v2
	v_fma_f32 v4, v21, v4, -v2
	v_fma_f32 v1, 0.5, v6, v22
	v_fma_f32 v6, v6, 0.5, -v22
	v_fma_f32 v2, -v3, v7, v23
	v_fma_f32 v4, -v3, v7, v4
	v_add_nc_u32_e32 v7, v74, v5
	v_fmac_f32_e32 v1, v3, v21
	v_fma_f32 v3, -v3, v21, v6
	v_lshlrev_b64 v[5:6], 3, v[53:54]
	v_mov_b32_e32 v53, v49
	ds_write_b64 v20, v[1:2]
	ds_write_b64 v0, v[3:4] offset:23200
	ds_read_b64 v[1:2], v7
	ds_read_b64 v[3:4], v0 offset:22400
	v_add_co_u32 v5, s0, s1, v5
	v_add_co_ci_u32_e64 v6, s0, s4, v6, s0
	global_load_dwordx2 v[5:6], v[5:6], off
	s_waitcnt lgkmcnt(0)
	v_sub_f32_e32 v20, v1, v3
	v_add_f32_e32 v21, v2, v4
	v_sub_f32_e32 v2, v2, v4
	v_add_f32_e32 v3, v1, v3
	v_mul_f32_e32 v20, 0.5, v20
	v_mul_f32_e32 v21, 0.5, v21
	;; [unrolled: 1-line block ×3, first 2 shown]
	s_waitcnt vmcnt(6)
	v_mul_f32_e32 v4, v9, v20
	v_fma_f32 v22, v21, v9, v2
	v_fma_f32 v9, v21, v9, -v2
	v_fma_f32 v1, 0.5, v3, v4
	v_fma_f32 v23, v3, 0.5, -v4
	v_lshlrev_b64 v[3:4], 3, v[52:53]
	v_fma_f32 v2, -v8, v20, v22
	v_fma_f32 v9, -v8, v20, v9
	v_fmac_f32_e32 v1, v8, v21
	v_fma_f32 v8, -v8, v21, v23
	ds_write_b64 v7, v[1:2]
	ds_write_b64 v0, v[8:9] offset:22400
	v_add_co_u32 v3, s0, s1, v3
	v_add_co_ci_u32_e64 v4, s0, s4, v4, s0
	ds_read_b64 v[1:2], v86
	ds_read_b64 v[7:8], v0 offset:21600
	global_load_dwordx2 v[3:4], v[3:4], off
	s_waitcnt lgkmcnt(0)
	v_sub_f32_e32 v9, v1, v7
	v_add_f32_e32 v20, v2, v8
	v_sub_f32_e32 v2, v2, v8
	v_add_f32_e32 v7, v1, v7
	v_mul_f32_e32 v9, 0.5, v9
	v_mul_f32_e32 v20, 0.5, v20
	v_mul_f32_e32 v2, 0.5, v2
	s_waitcnt vmcnt(6)
	v_mul_f32_e32 v8, v11, v9
	v_fma_f32 v21, v20, v11, v2
	v_fma_f32 v11, v20, v11, -v2
	v_fma_f32 v1, 0.5, v7, v8
	v_fma_f32 v22, v7, 0.5, -v8
	v_lshlrev_b64 v[7:8], 3, v[48:49]
	v_fma_f32 v2, -v10, v9, v21
	v_fma_f32 v11, -v10, v9, v11
	v_fmac_f32_e32 v1, v10, v20
	v_fma_f32 v10, -v10, v20, v22
	ds_write_b64 v86, v[1:2]
	ds_write_b64 v0, v[10:11] offset:21600
	v_add_co_u32 v7, s0, s1, v7
	v_add_co_ci_u32_e64 v8, s0, s4, v8, s0
	ds_read_b64 v[1:2], v75
	ds_read_b64 v[9:10], v0 offset:20800
	v_add_nc_u32_e32 v48, 0x44c, v44
	global_load_dwordx2 v[7:8], v[7:8], off
	s_waitcnt lgkmcnt(0)
	v_sub_f32_e32 v11, v1, v9
	v_add_f32_e32 v20, v2, v10
	v_sub_f32_e32 v2, v2, v10
	v_add_f32_e32 v9, v1, v9
	v_mul_f32_e32 v11, 0.5, v11
	v_mul_f32_e32 v20, 0.5, v20
	v_mul_f32_e32 v2, 0.5, v2
	s_waitcnt vmcnt(6)
	v_mul_f32_e32 v10, v13, v11
	v_fma_f32 v21, v20, v13, v2
	v_fma_f32 v13, v20, v13, -v2
	v_fma_f32 v1, 0.5, v9, v10
	v_fma_f32 v22, v9, 0.5, -v10
	v_lshlrev_b64 v[9:10], 3, v[48:49]
	v_fma_f32 v2, -v12, v11, v21
	v_fma_f32 v13, -v12, v11, v13
	v_fmac_f32_e32 v1, v12, v20
	v_fma_f32 v12, -v12, v20, v22
	ds_write_b64 v75, v[1:2]
	ds_write_b64 v0, v[12:13] offset:20800
	v_add_co_u32 v9, s0, s1, v9
	v_add_co_ci_u32_e64 v10, s0, s4, v10, s0
	ds_read_b64 v[1:2], v84
	ds_read_b64 v[11:12], v0 offset:20000
	v_add_nc_u32_e32 v48, 0x4b0, v44
	;; [unrolled: 27-line block ×4, first 2 shown]
	global_load_dwordx2 v[13:14], v[13:14], off
	s_waitcnt lgkmcnt(0)
	v_add_f32_e32 v20, v2, v16
	v_sub_f32_e32 v2, v2, v16
	v_sub_f32_e32 v17, v1, v15
	v_add_f32_e32 v21, v1, v15
	v_mul_f32_e32 v20, 0.5, v20
	v_mul_f32_e32 v16, 0.5, v2
	v_lshlrev_b64 v[1:2], 3, v[48:49]
	v_mul_f32_e32 v17, 0.5, v17
	s_waitcnt vmcnt(6)
	v_fma_f32 v23, v20, v19, v16
	v_add_co_u32 v1, s0, s1, v1
	v_add_co_ci_u32_e64 v2, s0, s4, v2, s0
	v_mul_f32_e32 v22, v19, v17
	v_fma_f32 v19, v20, v19, -v16
	v_fma_f32 v16, -v18, v17, v23
	global_load_dwordx2 v[1:2], v[1:2], off
	v_fma_f32 v15, 0.5, v21, v22
	v_fma_f32 v21, v21, 0.5, -v22
	v_fma_f32 v19, -v18, v17, v19
	v_fmac_f32_e32 v15, v18, v20
	v_fma_f32 v18, -v18, v20, v21
	ds_write_b64 v80, v[15:16]
	ds_write_b64 v0, v[18:19] offset:18400
	ds_read_b64 v[15:16], v78
	ds_read_b64 v[17:18], v0 offset:17600
	s_waitcnt lgkmcnt(0)
	v_sub_f32_e32 v19, v15, v17
	v_add_f32_e32 v20, v16, v18
	v_sub_f32_e32 v16, v16, v18
	v_add_f32_e32 v17, v15, v17
	v_mul_f32_e32 v18, 0.5, v19
	v_mul_f32_e32 v19, 0.5, v20
	;; [unrolled: 1-line block ×3, first 2 shown]
	s_waitcnt vmcnt(6)
	v_mul_f32_e32 v20, v6, v18
	v_fma_f32 v21, v19, v6, v16
	v_fma_f32 v6, v19, v6, -v16
	v_fma_f32 v15, 0.5, v17, v20
	v_fma_f32 v17, v17, 0.5, -v20
	v_fma_f32 v16, -v5, v18, v21
	v_fma_f32 v6, -v5, v18, v6
	v_fmac_f32_e32 v15, v5, v19
	v_fma_f32 v5, -v5, v19, v17
	ds_write_b64 v78, v[15:16]
	ds_write_b64 v0, v[5:6] offset:17600
	ds_read_b64 v[5:6], v76
	ds_read_b64 v[15:16], v0 offset:16800
	s_waitcnt lgkmcnt(0)
	v_sub_f32_e32 v17, v5, v15
	v_add_f32_e32 v18, v6, v16
	v_sub_f32_e32 v6, v6, v16
	v_add_f32_e32 v5, v5, v15
	v_mul_f32_e32 v16, 0.5, v17
	v_mul_f32_e32 v17, 0.5, v18
	;; [unrolled: 1-line block ×3, first 2 shown]
	s_waitcnt vmcnt(5)
	v_mul_f32_e32 v15, v4, v16
	v_fma_f32 v18, v17, v4, v6
	v_fma_f32 v6, v17, v4, -v6
	v_fma_f32 v4, 0.5, v5, v15
	v_fma_f32 v15, v5, 0.5, -v15
	v_fma_f32 v5, -v3, v16, v18
	v_fma_f32 v16, -v3, v16, v6
	v_fmac_f32_e32 v4, v3, v17
	v_fma_f32 v15, -v3, v17, v15
	ds_write_b64 v76, v[4:5]
	ds_write_b64 v0, v[15:16] offset:16800
	ds_read_b64 v[3:4], v72 offset:8000
	ds_read_b64 v[5:6], v0 offset:16000
	s_waitcnt lgkmcnt(0)
	v_sub_f32_e32 v15, v3, v5
	v_add_f32_e32 v16, v4, v6
	v_sub_f32_e32 v4, v4, v6
	v_add_f32_e32 v5, v3, v5
	v_mul_f32_e32 v6, 0.5, v15
	v_mul_f32_e32 v15, 0.5, v16
	v_mul_f32_e32 v4, 0.5, v4
	s_waitcnt vmcnt(4)
	v_mul_f32_e32 v16, v8, v6
	v_fma_f32 v17, v15, v8, v4
	v_fma_f32 v8, v15, v8, -v4
	v_fma_f32 v3, 0.5, v5, v16
	v_fma_f32 v5, v5, 0.5, -v16
	v_fma_f32 v4, -v7, v6, v17
	v_fma_f32 v6, -v7, v6, v8
	v_fmac_f32_e32 v3, v7, v15
	v_fma_f32 v5, -v7, v15, v5
	ds_write_b64 v72, v[3:4] offset:8000
	ds_write_b64 v0, v[5:6] offset:16000
	ds_read_b64 v[3:4], v72 offset:8800
	ds_read_b64 v[5:6], v0 offset:15200
	s_waitcnt lgkmcnt(0)
	v_sub_f32_e32 v7, v3, v5
	v_add_f32_e32 v8, v4, v6
	v_sub_f32_e32 v4, v4, v6
	v_add_f32_e32 v5, v3, v5
	v_mul_f32_e32 v6, 0.5, v7
	v_mul_f32_e32 v7, 0.5, v8
	v_mul_f32_e32 v4, 0.5, v4
	s_waitcnt vmcnt(3)
	v_mul_f32_e32 v8, v10, v6
	v_fma_f32 v15, v7, v10, v4
	v_fma_f32 v10, v7, v10, -v4
	v_fma_f32 v3, 0.5, v5, v8
	v_fma_f32 v5, v5, 0.5, -v8
	v_fma_f32 v4, -v9, v6, v15
	v_fma_f32 v6, -v9, v6, v10
	v_fmac_f32_e32 v3, v9, v7
	v_fma_f32 v5, -v9, v7, v5
	ds_write_b64 v72, v[3:4] offset:8800
	;; [unrolled: 22-line block ×5, first 2 shown]
	ds_write_b64 v0, v[4:5] offset:12800
	s_waitcnt lgkmcnt(0)
	s_barrier
	buffer_gl0_inv
	s_and_saveexec_b32 s0, vcc_lo
	s_cbranch_execz .LBB0_20
; %bb.18:
	v_mul_lo_u32 v2, s3, v50
	v_mul_lo_u32 v3, s2, v51
	v_mad_u64_u32 v[0:1], null, s2, v50, 0
	v_lshl_add_u32 v24, v44, 3, 0
	v_mov_b32_e32 v45, v49
	v_lshlrev_b64 v[6:7], 3, v[46:47]
	v_add_nc_u32_e32 v48, 0x64, v44
	v_add_nc_u32_e32 v12, 0x400, v24
	v_add3_u32 v1, v1, v3, v2
	ds_read2_b64 v[2:5], v24 offset1:100
	v_lshlrev_b64 v[8:9], 3, v[44:45]
	v_lshlrev_b64 v[10:11], 3, v[48:49]
	v_add_nc_u32_e32 v48, 0xc8, v44
	v_lshlrev_b64 v[0:1], 3, v[0:1]
	v_add_nc_u32_e32 v14, 0x800, v24
	v_add_nc_u32_e32 v18, 0x1000, v24
	v_add_co_u32 v0, vcc_lo, s10, v0
	v_add_co_ci_u32_e32 v1, vcc_lo, s11, v1, vcc_lo
	v_add_co_u32 v0, vcc_lo, v0, v6
	v_add_co_ci_u32_e32 v1, vcc_lo, v1, v7, vcc_lo
	;; [unrolled: 2-line block ×4, first 2 shown]
	v_lshlrev_b64 v[10:11], 3, v[48:49]
	v_add_nc_u32_e32 v48, 0x12c, v44
	s_waitcnt lgkmcnt(0)
	global_store_dwordx2 v[6:7], v[2:3], off
	global_store_dwordx2 v[8:9], v[4:5], off
	ds_read2_b64 v[2:5], v12 offset0:72 offset1:172
	ds_read2_b64 v[6:9], v14 offset0:144 offset1:244
	v_lshlrev_b64 v[12:13], 3, v[48:49]
	v_add_nc_u32_e32 v48, 0x190, v44
	v_add_co_u32 v10, vcc_lo, v0, v10
	v_add_co_ci_u32_e32 v11, vcc_lo, v1, v11, vcc_lo
	v_lshlrev_b64 v[14:15], 3, v[48:49]
	v_add_co_u32 v12, vcc_lo, v0, v12
	v_add_co_ci_u32_e32 v13, vcc_lo, v1, v13, vcc_lo
	v_add_nc_u32_e32 v48, 0x1f4, v44
	v_add_co_u32 v14, vcc_lo, v0, v14
	v_add_co_ci_u32_e32 v15, vcc_lo, v1, v15, vcc_lo
	v_lshlrev_b64 v[16:17], 3, v[48:49]
	v_add_nc_u32_e32 v48, 0x258, v44
	s_waitcnt lgkmcnt(1)
	global_store_dwordx2 v[10:11], v[2:3], off
	global_store_dwordx2 v[12:13], v[4:5], off
	s_waitcnt lgkmcnt(0)
	global_store_dwordx2 v[14:15], v[6:7], off
	ds_read2_b64 v[2:5], v18 offset0:88 offset1:188
	v_lshlrev_b64 v[6:7], 3, v[48:49]
	v_add_nc_u32_e32 v48, 0x2bc, v44
	v_add_co_u32 v10, vcc_lo, v0, v16
	v_add_co_ci_u32_e32 v11, vcc_lo, v1, v17, vcc_lo
	v_lshlrev_b64 v[12:13], 3, v[48:49]
	v_add_nc_u32_e32 v48, 0x320, v44
	v_add_co_u32 v6, vcc_lo, v0, v6
	v_add_co_ci_u32_e32 v7, vcc_lo, v1, v7, vcc_lo
	v_add_co_u32 v12, vcc_lo, v0, v12
	v_lshlrev_b64 v[14:15], 3, v[48:49]
	v_add_nc_u32_e32 v48, 0x384, v44
	v_add_co_ci_u32_e32 v13, vcc_lo, v1, v13, vcc_lo
	v_add_nc_u32_e32 v16, 0x1800, v24
	global_store_dwordx2 v[10:11], v[8:9], off
	s_waitcnt lgkmcnt(0)
	global_store_dwordx2 v[6:7], v[2:3], off
	global_store_dwordx2 v[12:13], v[4:5], off
	v_lshlrev_b64 v[10:11], 3, v[48:49]
	v_add_nc_u32_e32 v48, 0x3e8, v44
	v_add_nc_u32_e32 v6, 0x1c00, v24
	ds_read2_b64 v[2:5], v16 offset0:32 offset1:132
	v_add_co_u32 v14, vcc_lo, v0, v14
	v_lshlrev_b64 v[12:13], 3, v[48:49]
	v_add_nc_u32_e32 v48, 0x44c, v44
	v_add_co_ci_u32_e32 v15, vcc_lo, v1, v15, vcc_lo
	ds_read2_b64 v[6:9], v6 offset0:104 offset1:204
	v_add_co_u32 v16, vcc_lo, v0, v10
	v_add_co_ci_u32_e32 v17, vcc_lo, v1, v11, vcc_lo
	v_lshlrev_b64 v[10:11], 3, v[48:49]
	v_add_co_u32 v18, vcc_lo, v0, v12
	v_add_nc_u32_e32 v12, 0x2400, v24
	v_add_co_ci_u32_e32 v19, vcc_lo, v1, v13, vcc_lo
	v_add_nc_u32_e32 v48, 0x4b0, v44
	v_add_co_u32 v20, vcc_lo, v0, v10
	v_add_co_ci_u32_e32 v21, vcc_lo, v1, v11, vcc_lo
	ds_read2_b64 v[10:13], v12 offset0:48 offset1:148
	v_lshlrev_b64 v[22:23], 3, v[48:49]
	v_add_nc_u32_e32 v48, 0x514, v44
	s_waitcnt lgkmcnt(2)
	global_store_dwordx2 v[14:15], v[2:3], off
	global_store_dwordx2 v[16:17], v[4:5], off
	s_waitcnt lgkmcnt(1)
	global_store_dwordx2 v[18:19], v[6:7], off
	global_store_dwordx2 v[20:21], v[8:9], off
	v_add_nc_u32_e32 v6, 0x2800, v24
	v_add_nc_u32_e32 v7, 0x3000, v24
	;; [unrolled: 1-line block ×3, first 2 shown]
	v_lshlrev_b64 v[2:3], 3, v[48:49]
	v_add_co_u32 v4, vcc_lo, v0, v22
	v_add_co_ci_u32_e32 v5, vcc_lo, v1, v23, vcc_lo
	v_add_nc_u32_e32 v48, 0x578, v44
	v_add_co_u32 v2, vcc_lo, v0, v2
	v_add_co_ci_u32_e32 v3, vcc_lo, v1, v3, vcc_lo
	v_lshlrev_b64 v[14:15], 3, v[48:49]
	v_add_nc_u32_e32 v48, 0x5dc, v44
	s_waitcnt lgkmcnt(0)
	global_store_dwordx2 v[4:5], v[10:11], off
	global_store_dwordx2 v[2:3], v[12:13], off
	ds_read2_b64 v[2:5], v6 offset0:120 offset1:220
	ds_read2_b64 v[6:9], v7 offset0:64 offset1:164
	v_lshlrev_b64 v[10:11], 3, v[48:49]
	v_add_nc_u32_e32 v48, 0x640, v44
	v_add_co_u32 v12, vcc_lo, v0, v14
	v_add_co_ci_u32_e32 v13, vcc_lo, v1, v15, vcc_lo
	v_lshlrev_b64 v[14:15], 3, v[48:49]
	v_add_co_u32 v10, vcc_lo, v0, v10
	v_add_co_ci_u32_e32 v11, vcc_lo, v1, v11, vcc_lo
	v_add_nc_u32_e32 v48, 0x6a4, v44
	v_add_co_u32 v14, vcc_lo, v0, v14
	v_add_co_ci_u32_e32 v15, vcc_lo, v1, v15, vcc_lo
	v_lshlrev_b64 v[16:17], 3, v[48:49]
	v_add_nc_u32_e32 v48, 0x708, v44
	s_waitcnt lgkmcnt(1)
	global_store_dwordx2 v[12:13], v[2:3], off
	global_store_dwordx2 v[10:11], v[4:5], off
	s_waitcnt lgkmcnt(0)
	global_store_dwordx2 v[14:15], v[6:7], off
	ds_read2_b64 v[2:5], v18 offset0:8 offset1:108
	v_lshlrev_b64 v[6:7], 3, v[48:49]
	v_add_nc_u32_e32 v48, 0x76c, v44
	v_add_co_u32 v10, vcc_lo, v0, v16
	v_add_co_ci_u32_e32 v11, vcc_lo, v1, v17, vcc_lo
	v_lshlrev_b64 v[12:13], 3, v[48:49]
	v_add_nc_u32_e32 v48, 0x7d0, v44
	v_add_co_u32 v6, vcc_lo, v0, v6
	v_add_co_ci_u32_e32 v7, vcc_lo, v1, v7, vcc_lo
	v_add_co_u32 v12, vcc_lo, v0, v12
	v_lshlrev_b64 v[14:15], 3, v[48:49]
	v_add_nc_u32_e32 v48, 0x834, v44
	v_add_co_ci_u32_e32 v13, vcc_lo, v1, v13, vcc_lo
	global_store_dwordx2 v[10:11], v[8:9], off
	s_waitcnt lgkmcnt(0)
	global_store_dwordx2 v[6:7], v[2:3], off
	global_store_dwordx2 v[12:13], v[4:5], off
	v_lshlrev_b64 v[10:11], 3, v[48:49]
	v_add_nc_u32_e32 v48, 0x898, v44
	v_add_nc_u32_e32 v16, 0x3c00, v24
	;; [unrolled: 1-line block ×3, first 2 shown]
	v_add_co_u32 v14, vcc_lo, v0, v14
	v_lshlrev_b64 v[12:13], 3, v[48:49]
	v_add_nc_u32_e32 v48, 0x8fc, v44
	v_add_co_ci_u32_e32 v15, vcc_lo, v1, v15, vcc_lo
	ds_read2_b64 v[2:5], v16 offset0:80 offset1:180
	v_add_co_u32 v16, vcc_lo, v0, v10
	ds_read2_b64 v[6:9], v6 offset0:152 offset1:252
	v_add_co_ci_u32_e32 v17, vcc_lo, v1, v11, vcc_lo
	v_lshlrev_b64 v[10:11], 3, v[48:49]
	v_add_co_u32 v18, vcc_lo, v0, v12
	v_add_nc_u32_e32 v12, 0x4800, v24
	v_add_co_ci_u32_e32 v19, vcc_lo, v1, v13, vcc_lo
	v_add_co_u32 v20, vcc_lo, v0, v10
	v_add_nc_u32_e32 v48, 0x960, v44
	v_add_co_ci_u32_e32 v21, vcc_lo, v1, v11, vcc_lo
	ds_read2_b64 v[10:13], v12 offset0:96 offset1:196
	s_waitcnt lgkmcnt(2)
	global_store_dwordx2 v[14:15], v[2:3], off
	global_store_dwordx2 v[16:17], v[4:5], off
	s_waitcnt lgkmcnt(1)
	global_store_dwordx2 v[18:19], v[6:7], off
	global_store_dwordx2 v[20:21], v[8:9], off
	v_lshlrev_b64 v[22:23], 3, v[48:49]
	v_add_nc_u32_e32 v48, 0x9c4, v44
	v_add_nc_u32_e32 v6, 0x5000, v24
	;; [unrolled: 1-line block ×3, first 2 shown]
	v_lshlrev_b64 v[2:3], 3, v[48:49]
	v_add_nc_u32_e32 v48, 0xa28, v44
	v_add_co_u32 v4, vcc_lo, v0, v22
	v_add_co_ci_u32_e32 v5, vcc_lo, v1, v23, vcc_lo
	v_lshlrev_b64 v[14:15], 3, v[48:49]
	v_add_nc_u32_e32 v48, 0xa8c, v44
	v_add_co_u32 v2, vcc_lo, v0, v2
	v_add_co_ci_u32_e32 v3, vcc_lo, v1, v3, vcc_lo
	s_waitcnt lgkmcnt(0)
	global_store_dwordx2 v[4:5], v[10:11], off
	v_lshlrev_b64 v[10:11], 3, v[48:49]
	v_add_nc_u32_e32 v48, 0xaf0, v44
	global_store_dwordx2 v[2:3], v[12:13], off
	v_add_co_u32 v12, vcc_lo, v0, v14
	ds_read2_b64 v[2:5], v6 offset0:40 offset1:140
	v_add_co_ci_u32_e32 v13, vcc_lo, v1, v15, vcc_lo
	v_lshlrev_b64 v[14:15], 3, v[48:49]
	v_add_nc_u32_e32 v48, 0xb54, v44
	ds_read2_b64 v[6:9], v7 offset0:112 offset1:212
	v_add_co_u32 v10, vcc_lo, v0, v10
	v_add_co_ci_u32_e32 v11, vcc_lo, v1, v11, vcc_lo
	v_lshlrev_b64 v[16:17], 3, v[48:49]
	v_add_co_u32 v14, vcc_lo, v0, v14
	v_add_co_ci_u32_e32 v15, vcc_lo, v1, v15, vcc_lo
	v_add_co_u32 v16, vcc_lo, v0, v16
	v_add_co_ci_u32_e32 v17, vcc_lo, v1, v17, vcc_lo
	v_cmp_eq_u32_e32 vcc_lo, 0x63, v44
	s_waitcnt lgkmcnt(1)
	global_store_dwordx2 v[12:13], v[2:3], off
	global_store_dwordx2 v[10:11], v[4:5], off
	s_waitcnt lgkmcnt(0)
	global_store_dwordx2 v[14:15], v[6:7], off
	global_store_dwordx2 v[16:17], v[8:9], off
	s_and_b32 exec_lo, exec_lo, vcc_lo
	s_cbranch_execz .LBB0_20
; %bb.19:
	v_mov_b32_e32 v2, 0
	v_add_co_u32 v0, vcc_lo, 0x5800, v0
	v_add_co_ci_u32_e32 v1, vcc_lo, 0, v1, vcc_lo
	ds_read_b64 v[2:3], v2 offset:24000
	s_waitcnt lgkmcnt(0)
	global_store_dwordx2 v[0:1], v[2:3], off offset:1472
.LBB0_20:
	s_endpgm
	.section	.rodata,"a",@progbits
	.p2align	6, 0x0
	.amdhsa_kernel fft_rtc_fwd_len3000_factors_10_3_10_10_wgs_100_tpt_100_halfLds_sp_op_CI_CI_unitstride_sbrr_R2C_dirReg
		.amdhsa_group_segment_fixed_size 0
		.amdhsa_private_segment_fixed_size 0
		.amdhsa_kernarg_size 104
		.amdhsa_user_sgpr_count 6
		.amdhsa_user_sgpr_private_segment_buffer 1
		.amdhsa_user_sgpr_dispatch_ptr 0
		.amdhsa_user_sgpr_queue_ptr 0
		.amdhsa_user_sgpr_kernarg_segment_ptr 1
		.amdhsa_user_sgpr_dispatch_id 0
		.amdhsa_user_sgpr_flat_scratch_init 0
		.amdhsa_user_sgpr_private_segment_size 0
		.amdhsa_wavefront_size32 1
		.amdhsa_uses_dynamic_stack 0
		.amdhsa_system_sgpr_private_segment_wavefront_offset 0
		.amdhsa_system_sgpr_workgroup_id_x 1
		.amdhsa_system_sgpr_workgroup_id_y 0
		.amdhsa_system_sgpr_workgroup_id_z 0
		.amdhsa_system_sgpr_workgroup_info 0
		.amdhsa_system_vgpr_workitem_id 0
		.amdhsa_next_free_vgpr 133
		.amdhsa_next_free_sgpr 27
		.amdhsa_reserve_vcc 1
		.amdhsa_reserve_flat_scratch 0
		.amdhsa_float_round_mode_32 0
		.amdhsa_float_round_mode_16_64 0
		.amdhsa_float_denorm_mode_32 3
		.amdhsa_float_denorm_mode_16_64 3
		.amdhsa_dx10_clamp 1
		.amdhsa_ieee_mode 1
		.amdhsa_fp16_overflow 0
		.amdhsa_workgroup_processor_mode 1
		.amdhsa_memory_ordered 1
		.amdhsa_forward_progress 0
		.amdhsa_shared_vgpr_count 0
		.amdhsa_exception_fp_ieee_invalid_op 0
		.amdhsa_exception_fp_denorm_src 0
		.amdhsa_exception_fp_ieee_div_zero 0
		.amdhsa_exception_fp_ieee_overflow 0
		.amdhsa_exception_fp_ieee_underflow 0
		.amdhsa_exception_fp_ieee_inexact 0
		.amdhsa_exception_int_div_zero 0
	.end_amdhsa_kernel
	.text
.Lfunc_end0:
	.size	fft_rtc_fwd_len3000_factors_10_3_10_10_wgs_100_tpt_100_halfLds_sp_op_CI_CI_unitstride_sbrr_R2C_dirReg, .Lfunc_end0-fft_rtc_fwd_len3000_factors_10_3_10_10_wgs_100_tpt_100_halfLds_sp_op_CI_CI_unitstride_sbrr_R2C_dirReg
                                        ; -- End function
	.section	.AMDGPU.csdata,"",@progbits
; Kernel info:
; codeLenInByte = 20028
; NumSgprs: 29
; NumVgprs: 133
; ScratchSize: 0
; MemoryBound: 0
; FloatMode: 240
; IeeeMode: 1
; LDSByteSize: 0 bytes/workgroup (compile time only)
; SGPRBlocks: 3
; VGPRBlocks: 16
; NumSGPRsForWavesPerEU: 29
; NumVGPRsForWavesPerEU: 133
; Occupancy: 7
; WaveLimiterHint : 1
; COMPUTE_PGM_RSRC2:SCRATCH_EN: 0
; COMPUTE_PGM_RSRC2:USER_SGPR: 6
; COMPUTE_PGM_RSRC2:TRAP_HANDLER: 0
; COMPUTE_PGM_RSRC2:TGID_X_EN: 1
; COMPUTE_PGM_RSRC2:TGID_Y_EN: 0
; COMPUTE_PGM_RSRC2:TGID_Z_EN: 0
; COMPUTE_PGM_RSRC2:TIDIG_COMP_CNT: 0
	.text
	.p2alignl 6, 3214868480
	.fill 48, 4, 3214868480
	.type	__hip_cuid_774dcb9311eb372d,@object ; @__hip_cuid_774dcb9311eb372d
	.section	.bss,"aw",@nobits
	.globl	__hip_cuid_774dcb9311eb372d
__hip_cuid_774dcb9311eb372d:
	.byte	0                               ; 0x0
	.size	__hip_cuid_774dcb9311eb372d, 1

	.ident	"AMD clang version 19.0.0git (https://github.com/RadeonOpenCompute/llvm-project roc-6.4.0 25133 c7fe45cf4b819c5991fe208aaa96edf142730f1d)"
	.section	".note.GNU-stack","",@progbits
	.addrsig
	.addrsig_sym __hip_cuid_774dcb9311eb372d
	.amdgpu_metadata
---
amdhsa.kernels:
  - .args:
      - .actual_access:  read_only
        .address_space:  global
        .offset:         0
        .size:           8
        .value_kind:     global_buffer
      - .offset:         8
        .size:           8
        .value_kind:     by_value
      - .actual_access:  read_only
        .address_space:  global
        .offset:         16
        .size:           8
        .value_kind:     global_buffer
      - .actual_access:  read_only
        .address_space:  global
        .offset:         24
        .size:           8
        .value_kind:     global_buffer
      - .actual_access:  read_only
        .address_space:  global
        .offset:         32
        .size:           8
        .value_kind:     global_buffer
      - .offset:         40
        .size:           8
        .value_kind:     by_value
      - .actual_access:  read_only
        .address_space:  global
        .offset:         48
        .size:           8
        .value_kind:     global_buffer
      - .actual_access:  read_only
        .address_space:  global
        .offset:         56
        .size:           8
        .value_kind:     global_buffer
      - .offset:         64
        .size:           4
        .value_kind:     by_value
      - .actual_access:  read_only
        .address_space:  global
        .offset:         72
        .size:           8
        .value_kind:     global_buffer
      - .actual_access:  read_only
        .address_space:  global
        .offset:         80
        .size:           8
        .value_kind:     global_buffer
      - .actual_access:  read_only
        .address_space:  global
        .offset:         88
        .size:           8
        .value_kind:     global_buffer
      - .actual_access:  write_only
        .address_space:  global
        .offset:         96
        .size:           8
        .value_kind:     global_buffer
    .group_segment_fixed_size: 0
    .kernarg_segment_align: 8
    .kernarg_segment_size: 104
    .language:       OpenCL C
    .language_version:
      - 2
      - 0
    .max_flat_workgroup_size: 100
    .name:           fft_rtc_fwd_len3000_factors_10_3_10_10_wgs_100_tpt_100_halfLds_sp_op_CI_CI_unitstride_sbrr_R2C_dirReg
    .private_segment_fixed_size: 0
    .sgpr_count:     29
    .sgpr_spill_count: 0
    .symbol:         fft_rtc_fwd_len3000_factors_10_3_10_10_wgs_100_tpt_100_halfLds_sp_op_CI_CI_unitstride_sbrr_R2C_dirReg.kd
    .uniform_work_group_size: 1
    .uses_dynamic_stack: false
    .vgpr_count:     133
    .vgpr_spill_count: 0
    .wavefront_size: 32
    .workgroup_processor_mode: 1
amdhsa.target:   amdgcn-amd-amdhsa--gfx1030
amdhsa.version:
  - 1
  - 2
...

	.end_amdgpu_metadata
